;; amdgpu-corpus repo=ROCm/rocSPARSE kind=compiled arch=gfx1250 opt=O3
	.amdgcn_target "amdgcn-amd-amdhsa--gfx1250"
	.amdhsa_code_object_version 6
	.section	.text._ZN9rocsparseL22ell_width_kernel_part1ILj512EiiEEvT1_PKT0_PS1_,"axG",@progbits,_ZN9rocsparseL22ell_width_kernel_part1ILj512EiiEEvT1_PKT0_PS1_,comdat
	.globl	_ZN9rocsparseL22ell_width_kernel_part1ILj512EiiEEvT1_PKT0_PS1_ ; -- Begin function _ZN9rocsparseL22ell_width_kernel_part1ILj512EiiEEvT1_PKT0_PS1_
	.p2align	8
	.type	_ZN9rocsparseL22ell_width_kernel_part1ILj512EiiEEvT1_PKT0_PS1_,@function
_ZN9rocsparseL22ell_width_kernel_part1ILj512EiiEEvT1_PKT0_PS1_: ; @_ZN9rocsparseL22ell_width_kernel_part1ILj512EiiEEvT1_PKT0_PS1_
; %bb.0:
	s_clause 0x1
	s_load_b32 s3, s[0:1], 0x0
	s_load_b128 s[4:7], s[0:1], 0x8
	s_bfe_u32 s2, ttmp6, 0x4000c
	s_and_b32 s8, ttmp6, 15
	s_add_co_i32 s2, s2, 1
	s_getreg_b32 s9, hwreg(HW_REG_IB_STS2, 6, 4)
	s_mul_i32 s2, ttmp9, s2
	v_dual_lshlrev_b32 v1, 2, v0 :: v_dual_mov_b32 v3, 0
	s_add_co_i32 s8, s8, s2
	s_cmp_eq_u32 s9, 0
	s_mov_b32 s9, 0
	s_cselect_b32 s2, ttmp9, s8
	s_mov_b32 s8, exec_lo
	v_lshl_or_b32 v2, s2, 9, v0
	ds_store_b32 v1, v3
	s_wait_kmcnt 0x0
	v_cmpx_gt_u32_e64 s3, v2
	s_cbranch_execz .LBB0_4
; %bb.1:
	s_load_b32 s0, s[0:1], 0x18
	v_mov_b32_e32 v4, v3
	s_wait_kmcnt 0x0
	s_lshl_b32 s0, s0, 9
.LBB0_2:                                ; =>This Inner Loop Header: Depth=1
	v_lshl_add_u64 v[6:7], v[2:3], 2, s[4:5]
	global_load_b64 v[6:7], v[6:7], off
	s_wait_loadcnt 0x0
	v_sub_nc_u32_e32 v5, v7, v6
	s_delay_alu instid0(VALU_DEP_1) | instskip(NEXT) | instid1(VALU_DEP_1)
	v_dual_add_nc_u32 v2, s0, v2 :: v_dual_max_i32 v4, v4, v5
	v_cmp_le_u32_e32 vcc_lo, s3, v2
	s_or_b32 s9, vcc_lo, s9
	s_delay_alu instid0(SALU_CYCLE_1)
	s_and_not1_b32 exec_lo, exec_lo, s9
	s_cbranch_execnz .LBB0_2
; %bb.3:
	s_or_b32 exec_lo, exec_lo, s9
	ds_store_b32 v1, v4
.LBB0_4:
	s_or_b32 exec_lo, exec_lo, s8
	s_delay_alu instid0(SALU_CYCLE_1)
	s_mov_b32 s0, exec_lo
	s_wait_dscnt 0x0
	s_barrier_signal -1
	s_barrier_wait -1
	v_cmpx_gt_u32_e32 0x100, v0
	s_cbranch_execz .LBB0_6
; %bb.5:
	ds_load_2addr_stride64_b32 v[2:3], v1 offset1:4
	s_wait_dscnt 0x0
	v_max_i32_e32 v2, v2, v3
	ds_store_b32 v1, v2
.LBB0_6:
	s_or_b32 exec_lo, exec_lo, s0
	s_delay_alu instid0(SALU_CYCLE_1)
	s_mov_b32 s0, exec_lo
	s_wait_dscnt 0x0
	s_barrier_signal -1
	s_barrier_wait -1
	v_cmpx_gt_u32_e32 0x80, v0
	s_cbranch_execz .LBB0_8
; %bb.7:
	ds_load_2addr_stride64_b32 v[2:3], v1 offset1:2
	s_wait_dscnt 0x0
	v_max_i32_e32 v2, v2, v3
	ds_store_b32 v1, v2
.LBB0_8:
	s_or_b32 exec_lo, exec_lo, s0
	s_delay_alu instid0(SALU_CYCLE_1)
	s_mov_b32 s0, exec_lo
	s_wait_dscnt 0x0
	s_barrier_signal -1
	s_barrier_wait -1
	v_cmpx_gt_u32_e32 64, v0
	s_cbranch_execz .LBB0_10
; %bb.9:
	ds_load_2addr_stride64_b32 v[2:3], v1 offset1:1
	s_wait_dscnt 0x0
	v_max_i32_e32 v2, v2, v3
	ds_store_b32 v1, v2
.LBB0_10:
	s_or_b32 exec_lo, exec_lo, s0
	s_delay_alu instid0(SALU_CYCLE_1)
	s_mov_b32 s0, exec_lo
	s_wait_dscnt 0x0
	s_barrier_signal -1
	s_barrier_wait -1
	v_cmpx_gt_u32_e32 32, v0
	s_cbranch_execz .LBB0_12
; %bb.11:
	ds_load_2addr_b32 v[2:3], v1 offset1:32
	s_wait_dscnt 0x0
	v_max_i32_e32 v2, v2, v3
	ds_store_b32 v1, v2
.LBB0_12:
	s_or_b32 exec_lo, exec_lo, s0
	s_delay_alu instid0(SALU_CYCLE_1)
	s_mov_b32 s0, exec_lo
	s_wait_dscnt 0x0
	s_barrier_signal -1
	s_barrier_wait -1
	v_cmpx_gt_u32_e32 16, v0
	s_cbranch_execz .LBB0_14
; %bb.13:
	ds_load_2addr_b32 v[2:3], v1 offset1:16
	s_wait_dscnt 0x0
	v_max_i32_e32 v2, v2, v3
	ds_store_b32 v1, v2
.LBB0_14:
	;; [unrolled: 14-line block ×5, first 2 shown]
	s_or_b32 exec_lo, exec_lo, s0
	v_cmp_eq_u32_e32 vcc_lo, 0, v0
	s_wait_dscnt 0x0
	s_barrier_signal -1
	s_barrier_wait -1
	s_and_saveexec_b32 s0, vcc_lo
	s_cbranch_execz .LBB0_22
; %bb.21:
	v_mov_b32_e32 v2, 0
	ds_load_b64 v[0:1], v2
	s_wait_dscnt 0x0
	v_max_i32_e32 v0, v0, v1
	ds_store_b32 v2, v0
.LBB0_22:
	s_or_b32 exec_lo, exec_lo, s0
	s_wait_dscnt 0x0
	s_barrier_signal -1
	s_barrier_wait -1
	s_and_saveexec_b32 s0, vcc_lo
	s_cbranch_execz .LBB0_24
; %bb.23:
	v_dual_mov_b32 v0, 0 :: v_dual_mov_b32 v1, s2
	ds_load_b32 v0, v0
	s_wait_dscnt 0x0
	global_store_b32 v1, v0, s[6:7] scale_offset
.LBB0_24:
	s_endpgm
	.section	.rodata,"a",@progbits
	.p2align	6, 0x0
	.amdhsa_kernel _ZN9rocsparseL22ell_width_kernel_part1ILj512EiiEEvT1_PKT0_PS1_
		.amdhsa_group_segment_fixed_size 2048
		.amdhsa_private_segment_fixed_size 0
		.amdhsa_kernarg_size 280
		.amdhsa_user_sgpr_count 2
		.amdhsa_user_sgpr_dispatch_ptr 0
		.amdhsa_user_sgpr_queue_ptr 0
		.amdhsa_user_sgpr_kernarg_segment_ptr 1
		.amdhsa_user_sgpr_dispatch_id 0
		.amdhsa_user_sgpr_kernarg_preload_length 0
		.amdhsa_user_sgpr_kernarg_preload_offset 0
		.amdhsa_user_sgpr_private_segment_size 0
		.amdhsa_wavefront_size32 1
		.amdhsa_uses_dynamic_stack 0
		.amdhsa_enable_private_segment 0
		.amdhsa_system_sgpr_workgroup_id_x 1
		.amdhsa_system_sgpr_workgroup_id_y 0
		.amdhsa_system_sgpr_workgroup_id_z 0
		.amdhsa_system_sgpr_workgroup_info 0
		.amdhsa_system_vgpr_workitem_id 0
		.amdhsa_next_free_vgpr 8
		.amdhsa_next_free_sgpr 10
		.amdhsa_named_barrier_count 0
		.amdhsa_reserve_vcc 1
		.amdhsa_float_round_mode_32 0
		.amdhsa_float_round_mode_16_64 0
		.amdhsa_float_denorm_mode_32 3
		.amdhsa_float_denorm_mode_16_64 3
		.amdhsa_fp16_overflow 0
		.amdhsa_memory_ordered 1
		.amdhsa_forward_progress 1
		.amdhsa_inst_pref_size 7
		.amdhsa_round_robin_scheduling 0
		.amdhsa_exception_fp_ieee_invalid_op 0
		.amdhsa_exception_fp_denorm_src 0
		.amdhsa_exception_fp_ieee_div_zero 0
		.amdhsa_exception_fp_ieee_overflow 0
		.amdhsa_exception_fp_ieee_underflow 0
		.amdhsa_exception_fp_ieee_inexact 0
		.amdhsa_exception_int_div_zero 0
	.end_amdhsa_kernel
	.section	.text._ZN9rocsparseL22ell_width_kernel_part1ILj512EiiEEvT1_PKT0_PS1_,"axG",@progbits,_ZN9rocsparseL22ell_width_kernel_part1ILj512EiiEEvT1_PKT0_PS1_,comdat
.Lfunc_end0:
	.size	_ZN9rocsparseL22ell_width_kernel_part1ILj512EiiEEvT1_PKT0_PS1_, .Lfunc_end0-_ZN9rocsparseL22ell_width_kernel_part1ILj512EiiEEvT1_PKT0_PS1_
                                        ; -- End function
	.set _ZN9rocsparseL22ell_width_kernel_part1ILj512EiiEEvT1_PKT0_PS1_.num_vgpr, 8
	.set _ZN9rocsparseL22ell_width_kernel_part1ILj512EiiEEvT1_PKT0_PS1_.num_agpr, 0
	.set _ZN9rocsparseL22ell_width_kernel_part1ILj512EiiEEvT1_PKT0_PS1_.numbered_sgpr, 10
	.set _ZN9rocsparseL22ell_width_kernel_part1ILj512EiiEEvT1_PKT0_PS1_.num_named_barrier, 0
	.set _ZN9rocsparseL22ell_width_kernel_part1ILj512EiiEEvT1_PKT0_PS1_.private_seg_size, 0
	.set _ZN9rocsparseL22ell_width_kernel_part1ILj512EiiEEvT1_PKT0_PS1_.uses_vcc, 1
	.set _ZN9rocsparseL22ell_width_kernel_part1ILj512EiiEEvT1_PKT0_PS1_.uses_flat_scratch, 0
	.set _ZN9rocsparseL22ell_width_kernel_part1ILj512EiiEEvT1_PKT0_PS1_.has_dyn_sized_stack, 0
	.set _ZN9rocsparseL22ell_width_kernel_part1ILj512EiiEEvT1_PKT0_PS1_.has_recursion, 0
	.set _ZN9rocsparseL22ell_width_kernel_part1ILj512EiiEEvT1_PKT0_PS1_.has_indirect_call, 0
	.section	.AMDGPU.csdata,"",@progbits
; Kernel info:
; codeLenInByte = 776
; TotalNumSgprs: 12
; NumVgprs: 8
; ScratchSize: 0
; MemoryBound: 0
; FloatMode: 240
; IeeeMode: 1
; LDSByteSize: 2048 bytes/workgroup (compile time only)
; SGPRBlocks: 0
; VGPRBlocks: 0
; NumSGPRsForWavesPerEU: 12
; NumVGPRsForWavesPerEU: 8
; NamedBarCnt: 0
; Occupancy: 16
; WaveLimiterHint : 0
; COMPUTE_PGM_RSRC2:SCRATCH_EN: 0
; COMPUTE_PGM_RSRC2:USER_SGPR: 2
; COMPUTE_PGM_RSRC2:TRAP_HANDLER: 0
; COMPUTE_PGM_RSRC2:TGID_X_EN: 1
; COMPUTE_PGM_RSRC2:TGID_Y_EN: 0
; COMPUTE_PGM_RSRC2:TGID_Z_EN: 0
; COMPUTE_PGM_RSRC2:TIDIG_COMP_CNT: 0
	.section	.text._ZN9rocsparseL22ell_width_kernel_part2ILj512EiEEvT0_PS1_,"axG",@progbits,_ZN9rocsparseL22ell_width_kernel_part2ILj512EiEEvT0_PS1_,comdat
	.globl	_ZN9rocsparseL22ell_width_kernel_part2ILj512EiEEvT0_PS1_ ; -- Begin function _ZN9rocsparseL22ell_width_kernel_part2ILj512EiEEvT0_PS1_
	.p2align	8
	.type	_ZN9rocsparseL22ell_width_kernel_part2ILj512EiEEvT0_PS1_,@function
_ZN9rocsparseL22ell_width_kernel_part2ILj512EiEEvT0_PS1_: ; @_ZN9rocsparseL22ell_width_kernel_part2ILj512EiEEvT0_PS1_
; %bb.0:
	s_clause 0x1
	s_load_b32 s4, s[0:1], 0x0
	s_load_b64 s[2:3], s[0:1], 0x8
	v_dual_mov_b32 v1, 0 :: v_dual_lshlrev_b32 v6, 2, v0
	s_wait_xcnt 0x0
	s_mov_b32 s0, exec_lo
	ds_store_b32 v6, v1
	s_wait_kmcnt 0x0
	v_cmpx_gt_u32_e64 s4, v0
	s_cbranch_execz .LBB1_10
; %bb.1:
	v_xad_u32 v3, v0, -1, s4
	v_mov_b32_e32 v2, v0
	s_mov_b32 s5, -1
	s_mov_b32 s1, exec_lo
	s_delay_alu instid0(VALU_DEP_2)
	v_cmpx_lt_u32_e32 0x1ff, v3
	s_cbranch_execz .LBB1_5
; %bb.2:
	v_dual_lshrrev_b32 v1, 9, v3 :: v_dual_mov_b32 v3, 0
	s_mov_b32 s5, 0
	s_delay_alu instid0(VALU_DEP_1) | instskip(SKIP_1) | instid1(VALU_DEP_2)
	v_dual_mov_b32 v9, 0 :: v_dual_add_nc_u32 v7, 1, v1
	v_or_b32_e32 v1, 0x200, v0
	v_and_b32_e32 v8, 0xfffffe, v7
	s_delay_alu instid0(VALU_DEP_2) | instskip(NEXT) | instid1(VALU_DEP_2)
	v_mov_b64_e32 v[4:5], v[0:1]
	v_dual_mov_b32 v1, 0 :: v_dual_mov_b32 v10, v8
.LBB1_3:                                ; =>This Inner Loop Header: Depth=1
	s_delay_alu instid0(VALU_DEP_1) | instskip(SKIP_1) | instid1(VALU_DEP_2)
	v_dual_mov_b32 v2, v4 :: v_dual_add_nc_u32 v10, -2, v10
	v_add_nc_u32_e32 v4, 0x400, v4
	v_lshl_add_u64 v[12:13], v[2:3], 2, s[2:3]
	v_dual_mov_b32 v2, v5 :: v_dual_add_nc_u32 v5, 0x400, v5
	s_delay_alu instid0(VALU_DEP_4) | instskip(NEXT) | instid1(VALU_DEP_2)
	v_cmp_eq_u32_e32 vcc_lo, 0, v10
	v_lshl_add_u64 v[14:15], v[2:3], 2, s[2:3]
	s_clause 0x1
	global_load_b32 v2, v[12:13], off
	global_load_b32 v11, v[14:15], off
	s_or_b32 s5, vcc_lo, s5
	s_wait_loadcnt 0x1
	v_max_i32_e32 v1, v1, v2
	s_wait_loadcnt 0x0
	v_max_i32_e32 v9, v9, v11
	s_and_not1_b32 exec_lo, exec_lo, s5
	s_cbranch_execnz .LBB1_3
; %bb.4:
	s_or_b32 exec_lo, exec_lo, s5
	v_cmp_ne_u32_e32 vcc_lo, v7, v8
	v_lshl_or_b32 v2, v8, 9, v0
	v_max_i32_e32 v1, v1, v9
	s_or_not1_b32 s5, vcc_lo, exec_lo
.LBB1_5:
	s_or_b32 exec_lo, exec_lo, s1
	s_and_saveexec_b32 s1, s5
	s_cbranch_execz .LBB1_9
; %bb.6:
	v_mov_b32_e32 v3, 0
	s_mov_b32 s5, 0
	s_delay_alu instid0(VALU_DEP_1)
	v_lshl_add_u64 v[4:5], v[2:3], 2, s[2:3]
.LBB1_7:                                ; =>This Inner Loop Header: Depth=1
	global_load_b32 v3, v[4:5], off
	v_add_nc_u32_e32 v2, 0x200, v2
	s_wait_xcnt 0x0
	v_add_nc_u64_e32 v[4:5], 0x800, v[4:5]
	s_delay_alu instid0(VALU_DEP_2)
	v_cmp_le_u32_e32 vcc_lo, s4, v2
	s_or_b32 s5, vcc_lo, s5
	s_wait_loadcnt 0x0
	v_max_i32_e32 v1, v1, v3
	s_and_not1_b32 exec_lo, exec_lo, s5
	s_cbranch_execnz .LBB1_7
; %bb.8:
	s_or_b32 exec_lo, exec_lo, s5
.LBB1_9:
	s_delay_alu instid0(SALU_CYCLE_1)
	s_or_b32 exec_lo, exec_lo, s1
	ds_store_b32 v6, v1
.LBB1_10:
	s_or_b32 exec_lo, exec_lo, s0
	s_delay_alu instid0(SALU_CYCLE_1)
	s_mov_b32 s0, exec_lo
	s_wait_dscnt 0x0
	s_barrier_signal -1
	s_barrier_wait -1
	v_cmpx_gt_u32_e32 0x100, v0
	s_cbranch_execz .LBB1_12
; %bb.11:
	ds_load_2addr_stride64_b32 v[2:3], v6 offset1:4
	s_wait_dscnt 0x0
	v_max_i32_e32 v1, v2, v3
	ds_store_b32 v6, v1
.LBB1_12:
	s_or_b32 exec_lo, exec_lo, s0
	s_delay_alu instid0(SALU_CYCLE_1)
	s_mov_b32 s0, exec_lo
	s_wait_dscnt 0x0
	s_barrier_signal -1
	s_barrier_wait -1
	v_cmpx_gt_u32_e32 0x80, v0
	s_cbranch_execz .LBB1_14
; %bb.13:
	ds_load_2addr_stride64_b32 v[2:3], v6 offset1:2
	s_wait_dscnt 0x0
	v_max_i32_e32 v1, v2, v3
	ds_store_b32 v6, v1
.LBB1_14:
	s_or_b32 exec_lo, exec_lo, s0
	s_delay_alu instid0(SALU_CYCLE_1)
	s_mov_b32 s0, exec_lo
	s_wait_dscnt 0x0
	s_barrier_signal -1
	s_barrier_wait -1
	v_cmpx_gt_u32_e32 64, v0
	s_cbranch_execz .LBB1_16
; %bb.15:
	ds_load_2addr_stride64_b32 v[2:3], v6 offset1:1
	s_wait_dscnt 0x0
	v_max_i32_e32 v1, v2, v3
	ds_store_b32 v6, v1
.LBB1_16:
	s_or_b32 exec_lo, exec_lo, s0
	s_delay_alu instid0(SALU_CYCLE_1)
	s_mov_b32 s0, exec_lo
	s_wait_dscnt 0x0
	s_barrier_signal -1
	s_barrier_wait -1
	v_cmpx_gt_u32_e32 32, v0
	s_cbranch_execz .LBB1_18
; %bb.17:
	ds_load_2addr_b32 v[2:3], v6 offset1:32
	s_wait_dscnt 0x0
	v_max_i32_e32 v1, v2, v3
	ds_store_b32 v6, v1
.LBB1_18:
	s_or_b32 exec_lo, exec_lo, s0
	s_delay_alu instid0(SALU_CYCLE_1)
	s_mov_b32 s0, exec_lo
	s_wait_dscnt 0x0
	s_barrier_signal -1
	s_barrier_wait -1
	v_cmpx_gt_u32_e32 16, v0
	s_cbranch_execz .LBB1_20
; %bb.19:
	ds_load_2addr_b32 v[2:3], v6 offset1:16
	s_wait_dscnt 0x0
	v_max_i32_e32 v1, v2, v3
	ds_store_b32 v6, v1
.LBB1_20:
	;; [unrolled: 14-line block ×5, first 2 shown]
	s_or_b32 exec_lo, exec_lo, s0
	v_cmp_eq_u32_e32 vcc_lo, 0, v0
	s_wait_dscnt 0x0
	s_barrier_signal -1
	s_barrier_wait -1
	s_and_saveexec_b32 s0, vcc_lo
	s_cbranch_execz .LBB1_28
; %bb.27:
	v_mov_b32_e32 v2, 0
	ds_load_b64 v[0:1], v2
	s_wait_dscnt 0x0
	v_max_i32_e32 v0, v0, v1
	ds_store_b32 v2, v0
.LBB1_28:
	s_or_b32 exec_lo, exec_lo, s0
	s_wait_dscnt 0x0
	s_barrier_signal -1
	s_barrier_wait -1
	s_and_saveexec_b32 s0, vcc_lo
	s_cbranch_execz .LBB1_30
; %bb.29:
	v_mov_b32_e32 v0, 0
	ds_load_b32 v1, v0
	s_wait_dscnt 0x0
	global_store_b32 v0, v1, s[2:3]
.LBB1_30:
	s_endpgm
	.section	.rodata,"a",@progbits
	.p2align	6, 0x0
	.amdhsa_kernel _ZN9rocsparseL22ell_width_kernel_part2ILj512EiEEvT0_PS1_
		.amdhsa_group_segment_fixed_size 2048
		.amdhsa_private_segment_fixed_size 0
		.amdhsa_kernarg_size 16
		.amdhsa_user_sgpr_count 2
		.amdhsa_user_sgpr_dispatch_ptr 0
		.amdhsa_user_sgpr_queue_ptr 0
		.amdhsa_user_sgpr_kernarg_segment_ptr 1
		.amdhsa_user_sgpr_dispatch_id 0
		.amdhsa_user_sgpr_kernarg_preload_length 0
		.amdhsa_user_sgpr_kernarg_preload_offset 0
		.amdhsa_user_sgpr_private_segment_size 0
		.amdhsa_wavefront_size32 1
		.amdhsa_uses_dynamic_stack 0
		.amdhsa_enable_private_segment 0
		.amdhsa_system_sgpr_workgroup_id_x 1
		.amdhsa_system_sgpr_workgroup_id_y 0
		.amdhsa_system_sgpr_workgroup_id_z 0
		.amdhsa_system_sgpr_workgroup_info 0
		.amdhsa_system_vgpr_workitem_id 0
		.amdhsa_next_free_vgpr 16
		.amdhsa_next_free_sgpr 6
		.amdhsa_named_barrier_count 0
		.amdhsa_reserve_vcc 1
		.amdhsa_float_round_mode_32 0
		.amdhsa_float_round_mode_16_64 0
		.amdhsa_float_denorm_mode_32 3
		.amdhsa_float_denorm_mode_16_64 3
		.amdhsa_fp16_overflow 0
		.amdhsa_memory_ordered 1
		.amdhsa_forward_progress 1
		.amdhsa_inst_pref_size 8
		.amdhsa_round_robin_scheduling 0
		.amdhsa_exception_fp_ieee_invalid_op 0
		.amdhsa_exception_fp_denorm_src 0
		.amdhsa_exception_fp_ieee_div_zero 0
		.amdhsa_exception_fp_ieee_overflow 0
		.amdhsa_exception_fp_ieee_underflow 0
		.amdhsa_exception_fp_ieee_inexact 0
		.amdhsa_exception_int_div_zero 0
	.end_amdhsa_kernel
	.section	.text._ZN9rocsparseL22ell_width_kernel_part2ILj512EiEEvT0_PS1_,"axG",@progbits,_ZN9rocsparseL22ell_width_kernel_part2ILj512EiEEvT0_PS1_,comdat
.Lfunc_end1:
	.size	_ZN9rocsparseL22ell_width_kernel_part2ILj512EiEEvT0_PS1_, .Lfunc_end1-_ZN9rocsparseL22ell_width_kernel_part2ILj512EiEEvT0_PS1_
                                        ; -- End function
	.set _ZN9rocsparseL22ell_width_kernel_part2ILj512EiEEvT0_PS1_.num_vgpr, 16
	.set _ZN9rocsparseL22ell_width_kernel_part2ILj512EiEEvT0_PS1_.num_agpr, 0
	.set _ZN9rocsparseL22ell_width_kernel_part2ILj512EiEEvT0_PS1_.numbered_sgpr, 6
	.set _ZN9rocsparseL22ell_width_kernel_part2ILj512EiEEvT0_PS1_.num_named_barrier, 0
	.set _ZN9rocsparseL22ell_width_kernel_part2ILj512EiEEvT0_PS1_.private_seg_size, 0
	.set _ZN9rocsparseL22ell_width_kernel_part2ILj512EiEEvT0_PS1_.uses_vcc, 1
	.set _ZN9rocsparseL22ell_width_kernel_part2ILj512EiEEvT0_PS1_.uses_flat_scratch, 0
	.set _ZN9rocsparseL22ell_width_kernel_part2ILj512EiEEvT0_PS1_.has_dyn_sized_stack, 0
	.set _ZN9rocsparseL22ell_width_kernel_part2ILj512EiEEvT0_PS1_.has_recursion, 0
	.set _ZN9rocsparseL22ell_width_kernel_part2ILj512EiEEvT0_PS1_.has_indirect_call, 0
	.section	.AMDGPU.csdata,"",@progbits
; Kernel info:
; codeLenInByte = 980
; TotalNumSgprs: 8
; NumVgprs: 16
; ScratchSize: 0
; MemoryBound: 0
; FloatMode: 240
; IeeeMode: 1
; LDSByteSize: 2048 bytes/workgroup (compile time only)
; SGPRBlocks: 0
; VGPRBlocks: 0
; NumSGPRsForWavesPerEU: 8
; NumVGPRsForWavesPerEU: 16
; NamedBarCnt: 0
; Occupancy: 16
; WaveLimiterHint : 0
; COMPUTE_PGM_RSRC2:SCRATCH_EN: 0
; COMPUTE_PGM_RSRC2:USER_SGPR: 2
; COMPUTE_PGM_RSRC2:TRAP_HANDLER: 0
; COMPUTE_PGM_RSRC2:TGID_X_EN: 1
; COMPUTE_PGM_RSRC2:TGID_Y_EN: 0
; COMPUTE_PGM_RSRC2:TGID_Z_EN: 0
; COMPUTE_PGM_RSRC2:TIDIG_COMP_CNT: 0
	.section	.text._ZN9rocsparseL11hyb_coo_nnzILj512EEEviiPKiPi21rocsparse_index_base_,"axG",@progbits,_ZN9rocsparseL11hyb_coo_nnzILj512EEEviiPKiPi21rocsparse_index_base_,comdat
	.globl	_ZN9rocsparseL11hyb_coo_nnzILj512EEEviiPKiPi21rocsparse_index_base_ ; -- Begin function _ZN9rocsparseL11hyb_coo_nnzILj512EEEviiPKiPi21rocsparse_index_base_
	.p2align	8
	.type	_ZN9rocsparseL11hyb_coo_nnzILj512EEEviiPKiPi21rocsparse_index_base_,@function
_ZN9rocsparseL11hyb_coo_nnzILj512EEEviiPKiPi21rocsparse_index_base_: ; @_ZN9rocsparseL11hyb_coo_nnzILj512EEEviiPKiPi21rocsparse_index_base_
; %bb.0:
	s_clause 0x1
	s_load_b64 s[2:3], s[0:1], 0x0
	s_load_b128 s[4:7], s[0:1], 0x8
	s_bfe_u32 s8, ttmp6, 0x4000c
	s_and_b32 s9, ttmp6, 15
	s_add_co_i32 s8, s8, 1
	s_getreg_b32 s10, hwreg(HW_REG_IB_STS2, 6, 4)
	s_mul_i32 s8, ttmp9, s8
	s_delay_alu instid0(SALU_CYCLE_1) | instskip(SKIP_2) | instid1(SALU_CYCLE_1)
	s_add_co_i32 s9, s9, s8
	s_cmp_eq_u32 s10, 0
	s_cselect_b32 s8, ttmp9, s9
	v_lshl_or_b32 v0, s8, 9, v0
	s_wait_kmcnt 0x0
	s_delay_alu instid0(VALU_DEP_1)
	v_cmp_gt_i32_e32 vcc_lo, s2, v0
	s_and_saveexec_b32 s2, vcc_lo
	s_cbranch_execz .LBB2_2
; %bb.1:
	v_ashrrev_i32_e32 v1, 31, v0
	s_delay_alu instid0(VALU_DEP_1) | instskip(SKIP_3) | instid1(VALU_DEP_1)
	v_lshl_add_u64 v[2:3], v[0:1], 2, s[4:5]
	global_load_b64 v[2:3], v[2:3], off
	s_wait_loadcnt 0x0
	v_sub_nc_u32_e32 v1, v3, v2
	v_subrev_nc_u32_e32 v2, s3, v1
	v_cmp_lt_i32_e32 vcc_lo, s3, v1
	s_delay_alu instid0(VALU_DEP_2)
	v_cndmask_b32_e32 v1, 0, v2, vcc_lo
	global_store_b32 v0, v1, s[6:7] offset:4 scale_offset
.LBB2_2:
	s_wait_xcnt 0x0
	s_or_b32 exec_lo, exec_lo, s2
	s_delay_alu instid0(SALU_CYCLE_1)
	s_mov_b32 s2, exec_lo
	v_cmpx_eq_u32_e32 0, v0
	s_cbranch_execz .LBB2_4
; %bb.3:
	s_load_b32 s0, s[0:1], 0x18
	s_wait_kmcnt 0x0
	v_dual_mov_b32 v0, 0 :: v_dual_mov_b32 v1, s0
	global_store_b32 v0, v1, s[6:7]
.LBB2_4:
	s_endpgm
	.section	.rodata,"a",@progbits
	.p2align	6, 0x0
	.amdhsa_kernel _ZN9rocsparseL11hyb_coo_nnzILj512EEEviiPKiPi21rocsparse_index_base_
		.amdhsa_group_segment_fixed_size 0
		.amdhsa_private_segment_fixed_size 0
		.amdhsa_kernarg_size 28
		.amdhsa_user_sgpr_count 2
		.amdhsa_user_sgpr_dispatch_ptr 0
		.amdhsa_user_sgpr_queue_ptr 0
		.amdhsa_user_sgpr_kernarg_segment_ptr 1
		.amdhsa_user_sgpr_dispatch_id 0
		.amdhsa_user_sgpr_kernarg_preload_length 0
		.amdhsa_user_sgpr_kernarg_preload_offset 0
		.amdhsa_user_sgpr_private_segment_size 0
		.amdhsa_wavefront_size32 1
		.amdhsa_uses_dynamic_stack 0
		.amdhsa_enable_private_segment 0
		.amdhsa_system_sgpr_workgroup_id_x 1
		.amdhsa_system_sgpr_workgroup_id_y 0
		.amdhsa_system_sgpr_workgroup_id_z 0
		.amdhsa_system_sgpr_workgroup_info 0
		.amdhsa_system_vgpr_workitem_id 0
		.amdhsa_next_free_vgpr 4
		.amdhsa_next_free_sgpr 11
		.amdhsa_named_barrier_count 0
		.amdhsa_reserve_vcc 1
		.amdhsa_float_round_mode_32 0
		.amdhsa_float_round_mode_16_64 0
		.amdhsa_float_denorm_mode_32 3
		.amdhsa_float_denorm_mode_16_64 3
		.amdhsa_fp16_overflow 0
		.amdhsa_memory_ordered 1
		.amdhsa_forward_progress 1
		.amdhsa_inst_pref_size 2
		.amdhsa_round_robin_scheduling 0
		.amdhsa_exception_fp_ieee_invalid_op 0
		.amdhsa_exception_fp_denorm_src 0
		.amdhsa_exception_fp_ieee_div_zero 0
		.amdhsa_exception_fp_ieee_overflow 0
		.amdhsa_exception_fp_ieee_underflow 0
		.amdhsa_exception_fp_ieee_inexact 0
		.amdhsa_exception_int_div_zero 0
	.end_amdhsa_kernel
	.section	.text._ZN9rocsparseL11hyb_coo_nnzILj512EEEviiPKiPi21rocsparse_index_base_,"axG",@progbits,_ZN9rocsparseL11hyb_coo_nnzILj512EEEviiPKiPi21rocsparse_index_base_,comdat
.Lfunc_end2:
	.size	_ZN9rocsparseL11hyb_coo_nnzILj512EEEviiPKiPi21rocsparse_index_base_, .Lfunc_end2-_ZN9rocsparseL11hyb_coo_nnzILj512EEEviiPKiPi21rocsparse_index_base_
                                        ; -- End function
	.set _ZN9rocsparseL11hyb_coo_nnzILj512EEEviiPKiPi21rocsparse_index_base_.num_vgpr, 4
	.set _ZN9rocsparseL11hyb_coo_nnzILj512EEEviiPKiPi21rocsparse_index_base_.num_agpr, 0
	.set _ZN9rocsparseL11hyb_coo_nnzILj512EEEviiPKiPi21rocsparse_index_base_.numbered_sgpr, 11
	.set _ZN9rocsparseL11hyb_coo_nnzILj512EEEviiPKiPi21rocsparse_index_base_.num_named_barrier, 0
	.set _ZN9rocsparseL11hyb_coo_nnzILj512EEEviiPKiPi21rocsparse_index_base_.private_seg_size, 0
	.set _ZN9rocsparseL11hyb_coo_nnzILj512EEEviiPKiPi21rocsparse_index_base_.uses_vcc, 1
	.set _ZN9rocsparseL11hyb_coo_nnzILj512EEEviiPKiPi21rocsparse_index_base_.uses_flat_scratch, 0
	.set _ZN9rocsparseL11hyb_coo_nnzILj512EEEviiPKiPi21rocsparse_index_base_.has_dyn_sized_stack, 0
	.set _ZN9rocsparseL11hyb_coo_nnzILj512EEEviiPKiPi21rocsparse_index_base_.has_recursion, 0
	.set _ZN9rocsparseL11hyb_coo_nnzILj512EEEviiPKiPi21rocsparse_index_base_.has_indirect_call, 0
	.section	.AMDGPU.csdata,"",@progbits
; Kernel info:
; codeLenInByte = 212
; TotalNumSgprs: 13
; NumVgprs: 4
; ScratchSize: 0
; MemoryBound: 0
; FloatMode: 240
; IeeeMode: 1
; LDSByteSize: 0 bytes/workgroup (compile time only)
; SGPRBlocks: 0
; VGPRBlocks: 0
; NumSGPRsForWavesPerEU: 13
; NumVGPRsForWavesPerEU: 4
; NamedBarCnt: 0
; Occupancy: 16
; WaveLimiterHint : 0
; COMPUTE_PGM_RSRC2:SCRATCH_EN: 0
; COMPUTE_PGM_RSRC2:USER_SGPR: 2
; COMPUTE_PGM_RSRC2:TRAP_HANDLER: 0
; COMPUTE_PGM_RSRC2:TGID_X_EN: 1
; COMPUTE_PGM_RSRC2:TGID_Y_EN: 0
; COMPUTE_PGM_RSRC2:TGID_Z_EN: 0
; COMPUTE_PGM_RSRC2:TIDIG_COMP_CNT: 0
	.section	.text._ZN9rocsparseL14csr2hyb_kernelILj512EfEEviPKT0_PKiS5_iPiPS1_S6_S6_S7_S6_21rocsparse_index_base_,"axG",@progbits,_ZN9rocsparseL14csr2hyb_kernelILj512EfEEviPKT0_PKiS5_iPiPS1_S6_S6_S7_S6_21rocsparse_index_base_,comdat
	.globl	_ZN9rocsparseL14csr2hyb_kernelILj512EfEEviPKT0_PKiS5_iPiPS1_S6_S6_S7_S6_21rocsparse_index_base_ ; -- Begin function _ZN9rocsparseL14csr2hyb_kernelILj512EfEEviPKT0_PKiS5_iPiPS1_S6_S6_S7_S6_21rocsparse_index_base_
	.p2align	8
	.type	_ZN9rocsparseL14csr2hyb_kernelILj512EfEEviPKT0_PKiS5_iPiPS1_S6_S6_S7_S6_21rocsparse_index_base_,@function
_ZN9rocsparseL14csr2hyb_kernelILj512EfEEviPKT0_PKiS5_iPiPS1_S6_S6_S7_S6_21rocsparse_index_base_: ; @_ZN9rocsparseL14csr2hyb_kernelILj512EfEEviPKT0_PKiS5_iPiPS1_S6_S6_S7_S6_21rocsparse_index_base_
; %bb.0:
	s_load_b32 s2, s[0:1], 0x0
	s_bfe_u32 s3, ttmp6, 0x4000c
	s_and_b32 s4, ttmp6, 15
	s_add_co_i32 s3, s3, 1
	s_getreg_b32 s5, hwreg(HW_REG_IB_STS2, 6, 4)
	s_mul_i32 s3, ttmp9, s3
	s_delay_alu instid0(SALU_CYCLE_1) | instskip(SKIP_4) | instid1(SALU_CYCLE_1)
	s_add_co_i32 s4, s4, s3
	s_cmp_eq_u32 s5, 0
	s_cselect_b32 s3, ttmp9, s4
	s_mov_b32 s4, exec_lo
	s_lshl_b32 s3, s3, 9
	v_or_b32_e32 v2, s3, v0
	s_wait_kmcnt 0x0
	s_delay_alu instid0(VALU_DEP_1)
	v_cmpx_gt_i32_e64 s2, v2
	s_cbranch_execz .LBB3_23
; %bb.1:
	s_load_b128 s[16:19], s[0:1], 0x8
	v_ashrrev_i32_e32 v3, 31, v2
	s_wait_kmcnt 0x0
	s_delay_alu instid0(VALU_DEP_1)
	v_lshl_add_u64 v[4:5], v[2:3], 2, s[18:19]
	global_load_b64 v[4:5], v[4:5], off
	s_clause 0x2
	s_load_b256 s[4:11], s[0:1], 0x28
	s_load_b128 s[12:15], s[0:1], 0x48
	s_load_b32 s18, s[0:1], 0x58
	s_wait_kmcnt 0x0
	s_cmp_eq_u64 s[8:9], 0
	s_cbranch_scc1 .LBB3_3
; %bb.2:
	v_lshl_add_u64 v[6:7], v[2:3], 2, s[14:15]
	global_load_b32 v1, v[6:7], off
	s_wait_loadcnt 0x0
	v_subrev_nc_u32_e32 v1, s18, v1
	s_branch .LBB3_4
.LBB3_3:
	v_mov_b32_e32 v1, 0
.LBB3_4:
	s_load_b32 s14, s[0:1], 0x20
	s_wait_loadcnt 0x0
	v_subrev_nc_u32_e32 v6, s18, v4
	v_subrev_nc_u32_e32 v3, s18, v5
	s_mov_b32 s15, exec_lo
	v_cmpx_lt_i32_e64 v4, v5
	s_cbranch_execz .LBB3_12
; %bb.5:
	s_wait_xcnt 0x0
	s_load_b64 s[0:1], s[0:1], 0x18
	v_dual_mov_b32 v12, v6 :: v_dual_ashrrev_i32 v7, 31, v6
	s_delay_alu instid0(VALU_DEP_1) | instskip(SKIP_1) | instid1(VALU_DEP_2)
	v_lshlrev_b64_e32 v[10:11], 2, v[6:7]
	v_add_nc_u32_e32 v7, s18, v2
	v_add_nc_u64_e32 v[8:9], s[16:17], v[10:11]
	s_wait_kmcnt 0x0
	v_add_nc_u64_e32 v[10:11], s[0:1], v[10:11]
	s_mov_b32 s0, 0
	s_mov_b32 s1, 0
	s_branch .LBB3_8
.LBB3_6:                                ;   in Loop: Header=BB3_8 Depth=1
	global_load_b32 v13, v[10:11], off
	global_load_b32 v14, v[8:9], off
	v_mad_u32 v15, s1, s2, v2
	s_add_co_i32 s1, s1, 1
	s_wait_loadcnt 0x1
	global_store_b32 v15, v13, s[4:5] scale_offset
	s_wait_loadcnt 0x0
	global_store_b32 v15, v14, s[6:7] scale_offset
.LBB3_7:                                ;   in Loop: Header=BB3_8 Depth=1
	v_add_nc_u32_e32 v12, 1, v12
	s_wait_xcnt 0x2
	v_add_nc_u64_e32 v[8:9], 4, v[8:9]
	v_add_nc_u64_e32 v[10:11], 4, v[10:11]
	s_delay_alu instid0(VALU_DEP_3)
	v_cmp_ge_i32_e32 vcc_lo, v12, v3
	s_or_b32 s0, vcc_lo, s0
	s_wait_xcnt 0x0
	s_and_not1_b32 exec_lo, exec_lo, s0
	s_cbranch_execz .LBB3_12
.LBB3_8:                                ; =>This Inner Loop Header: Depth=1
	s_cmp_ge_i32 s1, s14
	s_mov_b32 s16, -1
                                        ; implicit-def: $vgpr13
	s_cbranch_scc0 .LBB3_10
; %bb.9:                                ;   in Loop: Header=BB3_8 Depth=1
	global_store_b32 v1, v7, s[8:9] scale_offset
	global_load_b32 v15, v[10:11], off
	global_load_b32 v14, v[8:9], off
	v_add_nc_u32_e32 v13, 1, v1
	s_mov_b32 s16, 0
	s_wait_loadcnt 0x1
	global_store_b32 v1, v15, s[10:11] scale_offset
	s_wait_loadcnt 0x0
	global_store_b32 v1, v14, s[12:13] scale_offset
.LBB3_10:                               ;   in Loop: Header=BB3_8 Depth=1
	s_and_not1_b32 vcc_lo, exec_lo, s16
	s_cbranch_vccz .LBB3_6
; %bb.11:                               ;   in Loop: Header=BB3_8 Depth=1
	s_wait_xcnt 0x0
	v_mov_b32_e32 v1, v13
	s_branch .LBB3_7
.LBB3_12:
	s_or_b32 exec_lo, exec_lo, s15
; %bb.13:
	v_sub_nc_u32_e32 v1, v3, v6
	s_wait_kmcnt 0x0
	s_delay_alu instid0(VALU_DEP_1)
	v_cmp_gt_i32_e32 vcc_lo, s14, v1
	s_and_b32 exec_lo, exec_lo, vcc_lo
	s_cbranch_execz .LBB3_23
; %bb.14:
	v_add_nc_u32_e32 v3, s14, v4
	s_mov_b32 s1, exec_lo
	s_delay_alu instid0(VALU_DEP_1) | instskip(NEXT) | instid1(VALU_DEP_1)
	v_sub_nc_u32_e32 v8, v3, v5
	v_cmp_gt_u32_e64 s0, 8, v8
	v_cmpx_lt_u32_e32 7, v8
	s_cbranch_execz .LBB3_20
; %bb.15:
	v_add_nc_u32_e32 v2, v2, v5
	v_not_b32_e32 v5, v5
	s_cmp_eq_u32 s2, 1
	s_mov_b32 s9, -1
	s_cselect_b32 s8, -1, 0
	v_sub_nc_u32_e32 v2, v2, v4
	s_delay_alu instid0(VALU_DEP_1) | instskip(NEXT) | instid1(VALU_DEP_1)
	v_add3_u32 v3, v3, v5, v2
	v_cmp_ge_i32_e32 vcc_lo, v3, v2
	s_and_b32 s10, s8, vcc_lo
	s_delay_alu instid0(SALU_CYCLE_1)
	s_and_saveexec_b32 s8, s10
	s_cbranch_execz .LBB3_19
; %bb.16:
	v_and_b32_e32 v9, -2, v8
	v_mov_b64_e32 v[4:5], -1
	v_mov_b64_e32 v[6:7], 0
	s_mov_b32 s9, 0
	s_delay_alu instid0(VALU_DEP_3)
	v_mov_b32_e32 v10, v9
.LBB3_17:                               ; =>This Inner Loop Header: Depth=1
	v_ashrrev_i32_e32 v3, 31, v2
	s_delay_alu instid0(VALU_DEP_2) | instskip(NEXT) | instid1(VALU_DEP_2)
	v_add_nc_u32_e32 v10, -2, v10
	v_lshlrev_b64_e32 v[12:13], 2, v[2:3]
	s_delay_alu instid0(VALU_DEP_2) | instskip(SKIP_2) | instid1(VALU_DEP_3)
	v_cmp_eq_u32_e32 vcc_lo, 0, v10
	v_add_nc_u32_e32 v2, 2, v2
	s_or_b32 s9, vcc_lo, s9
	v_add_nc_u64_e32 v[14:15], s[4:5], v[12:13]
	v_add_nc_u64_e32 v[12:13], s[6:7], v[12:13]
	global_store_b64 v[14:15], v[4:5], off
	global_store_b64 v[12:13], v[6:7], off
	s_wait_xcnt 0x0
	s_and_not1_b32 exec_lo, exec_lo, s9
	s_cbranch_execnz .LBB3_17
; %bb.18:
	s_or_b32 exec_lo, exec_lo, s9
	v_cmp_ne_u32_e32 vcc_lo, v8, v9
	v_add_nc_u32_e32 v1, v1, v9
	s_or_not1_b32 s9, vcc_lo, exec_lo
.LBB3_19:
	s_or_b32 exec_lo, exec_lo, s8
	s_delay_alu instid0(SALU_CYCLE_1) | instskip(SKIP_1) | instid1(SALU_CYCLE_1)
	s_and_not1_b32 s0, s0, exec_lo
	s_and_b32 s8, s9, exec_lo
	s_or_b32 s0, s0, s8
.LBB3_20:
	s_or_b32 exec_lo, exec_lo, s1
	s_delay_alu instid0(SALU_CYCLE_1)
	s_and_b32 exec_lo, exec_lo, s0
	s_cbranch_execz .LBB3_23
; %bb.21:
	v_mul_lo_u32 v3, v1, s2
	v_mov_b32_e32 v2, -1
	s_mov_b32 s0, 0
	s_delay_alu instid0(VALU_DEP_2)
	v_add3_u32 v0, v0, v3, s3
	v_mov_b32_e32 v3, 0
.LBB3_22:                               ; =>This Inner Loop Header: Depth=1
	v_add_nc_u32_e32 v1, 1, v1
	s_clause 0x1
	global_store_b32 v0, v2, s[4:5] scale_offset
	global_store_b32 v0, v3, s[6:7] scale_offset
	s_wait_xcnt 0x0
	v_add_nc_u32_e32 v0, s2, v0
	v_cmp_le_i32_e32 vcc_lo, s14, v1
	s_or_b32 s0, vcc_lo, s0
	s_delay_alu instid0(SALU_CYCLE_1)
	s_and_not1_b32 exec_lo, exec_lo, s0
	s_cbranch_execnz .LBB3_22
.LBB3_23:
	s_endpgm
	.section	.rodata,"a",@progbits
	.p2align	6, 0x0
	.amdhsa_kernel _ZN9rocsparseL14csr2hyb_kernelILj512EfEEviPKT0_PKiS5_iPiPS1_S6_S6_S7_S6_21rocsparse_index_base_
		.amdhsa_group_segment_fixed_size 0
		.amdhsa_private_segment_fixed_size 0
		.amdhsa_kernarg_size 92
		.amdhsa_user_sgpr_count 2
		.amdhsa_user_sgpr_dispatch_ptr 0
		.amdhsa_user_sgpr_queue_ptr 0
		.amdhsa_user_sgpr_kernarg_segment_ptr 1
		.amdhsa_user_sgpr_dispatch_id 0
		.amdhsa_user_sgpr_kernarg_preload_length 0
		.amdhsa_user_sgpr_kernarg_preload_offset 0
		.amdhsa_user_sgpr_private_segment_size 0
		.amdhsa_wavefront_size32 1
		.amdhsa_uses_dynamic_stack 0
		.amdhsa_enable_private_segment 0
		.amdhsa_system_sgpr_workgroup_id_x 1
		.amdhsa_system_sgpr_workgroup_id_y 0
		.amdhsa_system_sgpr_workgroup_id_z 0
		.amdhsa_system_sgpr_workgroup_info 0
		.amdhsa_system_vgpr_workitem_id 0
		.amdhsa_next_free_vgpr 16
		.amdhsa_next_free_sgpr 20
		.amdhsa_named_barrier_count 0
		.amdhsa_reserve_vcc 1
		.amdhsa_float_round_mode_32 0
		.amdhsa_float_round_mode_16_64 0
		.amdhsa_float_denorm_mode_32 3
		.amdhsa_float_denorm_mode_16_64 3
		.amdhsa_fp16_overflow 0
		.amdhsa_memory_ordered 1
		.amdhsa_forward_progress 1
		.amdhsa_inst_pref_size 7
		.amdhsa_round_robin_scheduling 0
		.amdhsa_exception_fp_ieee_invalid_op 0
		.amdhsa_exception_fp_denorm_src 0
		.amdhsa_exception_fp_ieee_div_zero 0
		.amdhsa_exception_fp_ieee_overflow 0
		.amdhsa_exception_fp_ieee_underflow 0
		.amdhsa_exception_fp_ieee_inexact 0
		.amdhsa_exception_int_div_zero 0
	.end_amdhsa_kernel
	.section	.text._ZN9rocsparseL14csr2hyb_kernelILj512EfEEviPKT0_PKiS5_iPiPS1_S6_S6_S7_S6_21rocsparse_index_base_,"axG",@progbits,_ZN9rocsparseL14csr2hyb_kernelILj512EfEEviPKT0_PKiS5_iPiPS1_S6_S6_S7_S6_21rocsparse_index_base_,comdat
.Lfunc_end3:
	.size	_ZN9rocsparseL14csr2hyb_kernelILj512EfEEviPKT0_PKiS5_iPiPS1_S6_S6_S7_S6_21rocsparse_index_base_, .Lfunc_end3-_ZN9rocsparseL14csr2hyb_kernelILj512EfEEviPKT0_PKiS5_iPiPS1_S6_S6_S7_S6_21rocsparse_index_base_
                                        ; -- End function
	.set _ZN9rocsparseL14csr2hyb_kernelILj512EfEEviPKT0_PKiS5_iPiPS1_S6_S6_S7_S6_21rocsparse_index_base_.num_vgpr, 16
	.set _ZN9rocsparseL14csr2hyb_kernelILj512EfEEviPKT0_PKiS5_iPiPS1_S6_S6_S7_S6_21rocsparse_index_base_.num_agpr, 0
	.set _ZN9rocsparseL14csr2hyb_kernelILj512EfEEviPKT0_PKiS5_iPiPS1_S6_S6_S7_S6_21rocsparse_index_base_.numbered_sgpr, 20
	.set _ZN9rocsparseL14csr2hyb_kernelILj512EfEEviPKT0_PKiS5_iPiPS1_S6_S6_S7_S6_21rocsparse_index_base_.num_named_barrier, 0
	.set _ZN9rocsparseL14csr2hyb_kernelILj512EfEEviPKT0_PKiS5_iPiPS1_S6_S6_S7_S6_21rocsparse_index_base_.private_seg_size, 0
	.set _ZN9rocsparseL14csr2hyb_kernelILj512EfEEviPKT0_PKiS5_iPiPS1_S6_S6_S7_S6_21rocsparse_index_base_.uses_vcc, 1
	.set _ZN9rocsparseL14csr2hyb_kernelILj512EfEEviPKT0_PKiS5_iPiPS1_S6_S6_S7_S6_21rocsparse_index_base_.uses_flat_scratch, 0
	.set _ZN9rocsparseL14csr2hyb_kernelILj512EfEEviPKT0_PKiS5_iPiPS1_S6_S6_S7_S6_21rocsparse_index_base_.has_dyn_sized_stack, 0
	.set _ZN9rocsparseL14csr2hyb_kernelILj512EfEEviPKT0_PKiS5_iPiPS1_S6_S6_S7_S6_21rocsparse_index_base_.has_recursion, 0
	.set _ZN9rocsparseL14csr2hyb_kernelILj512EfEEviPKT0_PKiS5_iPiPS1_S6_S6_S7_S6_21rocsparse_index_base_.has_indirect_call, 0
	.section	.AMDGPU.csdata,"",@progbits
; Kernel info:
; codeLenInByte = 868
; TotalNumSgprs: 22
; NumVgprs: 16
; ScratchSize: 0
; MemoryBound: 0
; FloatMode: 240
; IeeeMode: 1
; LDSByteSize: 0 bytes/workgroup (compile time only)
; SGPRBlocks: 0
; VGPRBlocks: 0
; NumSGPRsForWavesPerEU: 22
; NumVGPRsForWavesPerEU: 16
; NamedBarCnt: 0
; Occupancy: 16
; WaveLimiterHint : 0
; COMPUTE_PGM_RSRC2:SCRATCH_EN: 0
; COMPUTE_PGM_RSRC2:USER_SGPR: 2
; COMPUTE_PGM_RSRC2:TRAP_HANDLER: 0
; COMPUTE_PGM_RSRC2:TGID_X_EN: 1
; COMPUTE_PGM_RSRC2:TGID_Y_EN: 0
; COMPUTE_PGM_RSRC2:TGID_Z_EN: 0
; COMPUTE_PGM_RSRC2:TIDIG_COMP_CNT: 0
	.section	.text._ZN9rocsparseL14csr2hyb_kernelILj512EdEEviPKT0_PKiS5_iPiPS1_S6_S6_S7_S6_21rocsparse_index_base_,"axG",@progbits,_ZN9rocsparseL14csr2hyb_kernelILj512EdEEviPKT0_PKiS5_iPiPS1_S6_S6_S7_S6_21rocsparse_index_base_,comdat
	.globl	_ZN9rocsparseL14csr2hyb_kernelILj512EdEEviPKT0_PKiS5_iPiPS1_S6_S6_S7_S6_21rocsparse_index_base_ ; -- Begin function _ZN9rocsparseL14csr2hyb_kernelILj512EdEEviPKT0_PKiS5_iPiPS1_S6_S6_S7_S6_21rocsparse_index_base_
	.p2align	8
	.type	_ZN9rocsparseL14csr2hyb_kernelILj512EdEEviPKT0_PKiS5_iPiPS1_S6_S6_S7_S6_21rocsparse_index_base_,@function
_ZN9rocsparseL14csr2hyb_kernelILj512EdEEviPKT0_PKiS5_iPiPS1_S6_S6_S7_S6_21rocsparse_index_base_: ; @_ZN9rocsparseL14csr2hyb_kernelILj512EdEEviPKT0_PKiS5_iPiPS1_S6_S6_S7_S6_21rocsparse_index_base_
; %bb.0:
	s_load_b32 s2, s[0:1], 0x0
	s_bfe_u32 s3, ttmp6, 0x4000c
	s_and_b32 s4, ttmp6, 15
	s_add_co_i32 s3, s3, 1
	s_getreg_b32 s5, hwreg(HW_REG_IB_STS2, 6, 4)
	s_mul_i32 s3, ttmp9, s3
	s_delay_alu instid0(SALU_CYCLE_1) | instskip(SKIP_4) | instid1(SALU_CYCLE_1)
	s_add_co_i32 s4, s4, s3
	s_cmp_eq_u32 s5, 0
	s_cselect_b32 s3, ttmp9, s4
	s_mov_b32 s4, exec_lo
	s_lshl_b32 s3, s3, 9
	v_or_b32_e32 v2, s3, v0
	s_wait_kmcnt 0x0
	s_delay_alu instid0(VALU_DEP_1)
	v_cmpx_gt_i32_e64 s2, v2
	s_cbranch_execz .LBB4_16
; %bb.1:
	s_load_b128 s[16:19], s[0:1], 0x8
	v_ashrrev_i32_e32 v3, 31, v2
	s_wait_kmcnt 0x0
	s_delay_alu instid0(VALU_DEP_1)
	v_lshl_add_u64 v[4:5], v[2:3], 2, s[18:19]
	global_load_b64 v[6:7], v[4:5], off
	s_clause 0x2
	s_load_b256 s[4:11], s[0:1], 0x28
	s_load_b128 s[12:15], s[0:1], 0x48
	s_load_b32 s18, s[0:1], 0x58
	s_wait_kmcnt 0x0
	s_cmp_eq_u64 s[8:9], 0
	s_cbranch_scc1 .LBB4_3
; %bb.2:
	v_lshl_add_u64 v[4:5], v[2:3], 2, s[14:15]
	global_load_b32 v1, v[4:5], off
	s_wait_loadcnt 0x0
	v_subrev_nc_u32_e32 v1, s18, v1
	s_branch .LBB4_4
.LBB4_3:
	v_mov_b32_e32 v1, 0
.LBB4_4:
	s_load_b32 s14, s[0:1], 0x20
	s_wait_loadcnt 0x0
	v_subrev_nc_u32_e32 v4, s18, v6
	v_subrev_nc_u32_e32 v3, s18, v7
	s_mov_b32 s15, exec_lo
	v_cmpx_lt_i32_e64 v6, v7
	s_cbranch_execz .LBB4_12
; %bb.5:
	s_wait_xcnt 0x0
	s_load_b64 s[0:1], s[0:1], 0x18
	v_dual_ashrrev_i32 v5, 31, v4 :: v_dual_add_nc_u32 v10, s18, v2
	s_delay_alu instid0(VALU_DEP_1)
	v_lshl_add_u64 v[6:7], v[4:5], 3, s[16:17]
	s_wait_kmcnt 0x0
	v_lshl_add_u64 v[8:9], v[4:5], 2, s[0:1]
	v_mov_b32_e32 v5, v4
	s_mov_b32 s0, 0
	s_mov_b32 s1, 0
	s_branch .LBB4_8
.LBB4_6:                                ;   in Loop: Header=BB4_8 Depth=1
	global_load_b32 v11, v[8:9], off
	global_load_b64 v[12:13], v[6:7], off
	v_mad_u32 v14, s1, s2, v2
	s_add_co_i32 s1, s1, 1
	s_wait_loadcnt 0x1
	global_store_b32 v14, v11, s[4:5] scale_offset
	s_wait_loadcnt 0x0
	global_store_b64 v14, v[12:13], s[6:7] scale_offset
.LBB4_7:                                ;   in Loop: Header=BB4_8 Depth=1
	v_add_nc_u32_e32 v5, 1, v5
	s_wait_xcnt 0x2
	v_add_nc_u64_e32 v[6:7], 8, v[6:7]
	v_add_nc_u64_e32 v[8:9], 4, v[8:9]
	s_delay_alu instid0(VALU_DEP_3)
	v_cmp_ge_i32_e32 vcc_lo, v5, v3
	s_or_b32 s0, vcc_lo, s0
	s_wait_xcnt 0x0
	s_and_not1_b32 exec_lo, exec_lo, s0
	s_cbranch_execz .LBB4_12
.LBB4_8:                                ; =>This Inner Loop Header: Depth=1
	s_cmp_ge_i32 s1, s14
	s_mov_b32 s16, -1
                                        ; implicit-def: $vgpr11
	s_cbranch_scc0 .LBB4_10
; %bb.9:                                ;   in Loop: Header=BB4_8 Depth=1
	global_store_b32 v1, v10, s[8:9] scale_offset
	global_load_b32 v14, v[8:9], off
	global_load_b64 v[12:13], v[6:7], off
	v_add_nc_u32_e32 v11, 1, v1
	s_mov_b32 s16, 0
	s_wait_loadcnt 0x1
	global_store_b32 v1, v14, s[10:11] scale_offset
	s_wait_loadcnt 0x0
	global_store_b64 v1, v[12:13], s[12:13] scale_offset
.LBB4_10:                               ;   in Loop: Header=BB4_8 Depth=1
	s_and_not1_b32 vcc_lo, exec_lo, s16
	s_cbranch_vccz .LBB4_6
; %bb.11:                               ;   in Loop: Header=BB4_8 Depth=1
	s_wait_xcnt 0x0
	v_mov_b32_e32 v1, v11
	s_branch .LBB4_7
.LBB4_12:
	s_or_b32 exec_lo, exec_lo, s15
; %bb.13:
	v_sub_nc_u32_e32 v1, v3, v4
	s_wait_kmcnt 0x0
	s_delay_alu instid0(VALU_DEP_1)
	v_cmp_gt_i32_e32 vcc_lo, s14, v1
	s_and_b32 exec_lo, exec_lo, vcc_lo
	s_cbranch_execz .LBB4_16
; %bb.14:
	v_mul_lo_u32 v4, s2, v1
	v_mov_b64_e32 v[2:3], 0
	s_mov_b32 s0, 0
	s_delay_alu instid0(VALU_DEP_2)
	v_add3_u32 v0, v0, v4, s3
	v_mov_b32_e32 v4, -1
.LBB4_15:                               ; =>This Inner Loop Header: Depth=1
	v_add_nc_u32_e32 v1, 1, v1
	s_clause 0x1
	global_store_b32 v0, v4, s[4:5] scale_offset
	global_store_b64 v0, v[2:3], s[6:7] scale_offset
	s_wait_xcnt 0x0
	v_add_nc_u32_e32 v0, s2, v0
	v_cmp_le_i32_e32 vcc_lo, s14, v1
	s_or_b32 s0, vcc_lo, s0
	s_delay_alu instid0(SALU_CYCLE_1)
	s_and_not1_b32 exec_lo, exec_lo, s0
	s_cbranch_execnz .LBB4_15
.LBB4_16:
	s_endpgm
	.section	.rodata,"a",@progbits
	.p2align	6, 0x0
	.amdhsa_kernel _ZN9rocsparseL14csr2hyb_kernelILj512EdEEviPKT0_PKiS5_iPiPS1_S6_S6_S7_S6_21rocsparse_index_base_
		.amdhsa_group_segment_fixed_size 0
		.amdhsa_private_segment_fixed_size 0
		.amdhsa_kernarg_size 92
		.amdhsa_user_sgpr_count 2
		.amdhsa_user_sgpr_dispatch_ptr 0
		.amdhsa_user_sgpr_queue_ptr 0
		.amdhsa_user_sgpr_kernarg_segment_ptr 1
		.amdhsa_user_sgpr_dispatch_id 0
		.amdhsa_user_sgpr_kernarg_preload_length 0
		.amdhsa_user_sgpr_kernarg_preload_offset 0
		.amdhsa_user_sgpr_private_segment_size 0
		.amdhsa_wavefront_size32 1
		.amdhsa_uses_dynamic_stack 0
		.amdhsa_enable_private_segment 0
		.amdhsa_system_sgpr_workgroup_id_x 1
		.amdhsa_system_sgpr_workgroup_id_y 0
		.amdhsa_system_sgpr_workgroup_id_z 0
		.amdhsa_system_sgpr_workgroup_info 0
		.amdhsa_system_vgpr_workitem_id 0
		.amdhsa_next_free_vgpr 15
		.amdhsa_next_free_sgpr 20
		.amdhsa_named_barrier_count 0
		.amdhsa_reserve_vcc 1
		.amdhsa_float_round_mode_32 0
		.amdhsa_float_round_mode_16_64 0
		.amdhsa_float_denorm_mode_32 3
		.amdhsa_float_denorm_mode_16_64 3
		.amdhsa_fp16_overflow 0
		.amdhsa_memory_ordered 1
		.amdhsa_forward_progress 1
		.amdhsa_inst_pref_size 5
		.amdhsa_round_robin_scheduling 0
		.amdhsa_exception_fp_ieee_invalid_op 0
		.amdhsa_exception_fp_denorm_src 0
		.amdhsa_exception_fp_ieee_div_zero 0
		.amdhsa_exception_fp_ieee_overflow 0
		.amdhsa_exception_fp_ieee_underflow 0
		.amdhsa_exception_fp_ieee_inexact 0
		.amdhsa_exception_int_div_zero 0
	.end_amdhsa_kernel
	.section	.text._ZN9rocsparseL14csr2hyb_kernelILj512EdEEviPKT0_PKiS5_iPiPS1_S6_S6_S7_S6_21rocsparse_index_base_,"axG",@progbits,_ZN9rocsparseL14csr2hyb_kernelILj512EdEEviPKT0_PKiS5_iPiPS1_S6_S6_S7_S6_21rocsparse_index_base_,comdat
.Lfunc_end4:
	.size	_ZN9rocsparseL14csr2hyb_kernelILj512EdEEviPKT0_PKiS5_iPiPS1_S6_S6_S7_S6_21rocsparse_index_base_, .Lfunc_end4-_ZN9rocsparseL14csr2hyb_kernelILj512EdEEviPKT0_PKiS5_iPiPS1_S6_S6_S7_S6_21rocsparse_index_base_
                                        ; -- End function
	.set _ZN9rocsparseL14csr2hyb_kernelILj512EdEEviPKT0_PKiS5_iPiPS1_S6_S6_S7_S6_21rocsparse_index_base_.num_vgpr, 15
	.set _ZN9rocsparseL14csr2hyb_kernelILj512EdEEviPKT0_PKiS5_iPiPS1_S6_S6_S7_S6_21rocsparse_index_base_.num_agpr, 0
	.set _ZN9rocsparseL14csr2hyb_kernelILj512EdEEviPKT0_PKiS5_iPiPS1_S6_S6_S7_S6_21rocsparse_index_base_.numbered_sgpr, 20
	.set _ZN9rocsparseL14csr2hyb_kernelILj512EdEEviPKT0_PKiS5_iPiPS1_S6_S6_S7_S6_21rocsparse_index_base_.num_named_barrier, 0
	.set _ZN9rocsparseL14csr2hyb_kernelILj512EdEEviPKT0_PKiS5_iPiPS1_S6_S6_S7_S6_21rocsparse_index_base_.private_seg_size, 0
	.set _ZN9rocsparseL14csr2hyb_kernelILj512EdEEviPKT0_PKiS5_iPiPS1_S6_S6_S7_S6_21rocsparse_index_base_.uses_vcc, 1
	.set _ZN9rocsparseL14csr2hyb_kernelILj512EdEEviPKT0_PKiS5_iPiPS1_S6_S6_S7_S6_21rocsparse_index_base_.uses_flat_scratch, 0
	.set _ZN9rocsparseL14csr2hyb_kernelILj512EdEEviPKT0_PKiS5_iPiPS1_S6_S6_S7_S6_21rocsparse_index_base_.has_dyn_sized_stack, 0
	.set _ZN9rocsparseL14csr2hyb_kernelILj512EdEEviPKT0_PKiS5_iPiPS1_S6_S6_S7_S6_21rocsparse_index_base_.has_recursion, 0
	.set _ZN9rocsparseL14csr2hyb_kernelILj512EdEEviPKT0_PKiS5_iPiPS1_S6_S6_S7_S6_21rocsparse_index_base_.has_indirect_call, 0
	.section	.AMDGPU.csdata,"",@progbits
; Kernel info:
; codeLenInByte = 636
; TotalNumSgprs: 22
; NumVgprs: 15
; ScratchSize: 0
; MemoryBound: 0
; FloatMode: 240
; IeeeMode: 1
; LDSByteSize: 0 bytes/workgroup (compile time only)
; SGPRBlocks: 0
; VGPRBlocks: 0
; NumSGPRsForWavesPerEU: 22
; NumVGPRsForWavesPerEU: 15
; NamedBarCnt: 0
; Occupancy: 16
; WaveLimiterHint : 0
; COMPUTE_PGM_RSRC2:SCRATCH_EN: 0
; COMPUTE_PGM_RSRC2:USER_SGPR: 2
; COMPUTE_PGM_RSRC2:TRAP_HANDLER: 0
; COMPUTE_PGM_RSRC2:TGID_X_EN: 1
; COMPUTE_PGM_RSRC2:TGID_Y_EN: 0
; COMPUTE_PGM_RSRC2:TGID_Z_EN: 0
; COMPUTE_PGM_RSRC2:TIDIG_COMP_CNT: 0
	.section	.text._ZN9rocsparseL14csr2hyb_kernelILj512E21rocsparse_complex_numIfEEEviPKT0_PKiS7_iPiPS3_S8_S8_S9_S8_21rocsparse_index_base_,"axG",@progbits,_ZN9rocsparseL14csr2hyb_kernelILj512E21rocsparse_complex_numIfEEEviPKT0_PKiS7_iPiPS3_S8_S8_S9_S8_21rocsparse_index_base_,comdat
	.globl	_ZN9rocsparseL14csr2hyb_kernelILj512E21rocsparse_complex_numIfEEEviPKT0_PKiS7_iPiPS3_S8_S8_S9_S8_21rocsparse_index_base_ ; -- Begin function _ZN9rocsparseL14csr2hyb_kernelILj512E21rocsparse_complex_numIfEEEviPKT0_PKiS7_iPiPS3_S8_S8_S9_S8_21rocsparse_index_base_
	.p2align	8
	.type	_ZN9rocsparseL14csr2hyb_kernelILj512E21rocsparse_complex_numIfEEEviPKT0_PKiS7_iPiPS3_S8_S8_S9_S8_21rocsparse_index_base_,@function
_ZN9rocsparseL14csr2hyb_kernelILj512E21rocsparse_complex_numIfEEEviPKT0_PKiS7_iPiPS3_S8_S8_S9_S8_21rocsparse_index_base_: ; @_ZN9rocsparseL14csr2hyb_kernelILj512E21rocsparse_complex_numIfEEEviPKT0_PKiS7_iPiPS3_S8_S8_S9_S8_21rocsparse_index_base_
; %bb.0:
	s_load_b32 s2, s[0:1], 0x0
	s_bfe_u32 s3, ttmp6, 0x4000c
	s_and_b32 s4, ttmp6, 15
	s_add_co_i32 s3, s3, 1
	s_getreg_b32 s5, hwreg(HW_REG_IB_STS2, 6, 4)
	s_mul_i32 s3, ttmp9, s3
	s_delay_alu instid0(SALU_CYCLE_1) | instskip(SKIP_4) | instid1(SALU_CYCLE_1)
	s_add_co_i32 s4, s4, s3
	s_cmp_eq_u32 s5, 0
	s_cselect_b32 s3, ttmp9, s4
	s_mov_b32 s4, exec_lo
	s_lshl_b32 s3, s3, 9
	v_or_b32_e32 v2, s3, v0
	s_wait_kmcnt 0x0
	s_delay_alu instid0(VALU_DEP_1)
	v_cmpx_gt_i32_e64 s2, v2
	s_cbranch_execz .LBB5_16
; %bb.1:
	s_load_b128 s[16:19], s[0:1], 0x8
	v_ashrrev_i32_e32 v3, 31, v2
	s_wait_kmcnt 0x0
	s_delay_alu instid0(VALU_DEP_1)
	v_lshl_add_u64 v[4:5], v[2:3], 2, s[18:19]
	global_load_b64 v[6:7], v[4:5], off
	s_clause 0x2
	s_load_b256 s[4:11], s[0:1], 0x28
	s_load_b128 s[12:15], s[0:1], 0x48
	s_load_b32 s18, s[0:1], 0x58
	s_wait_kmcnt 0x0
	s_cmp_eq_u64 s[8:9], 0
	s_cbranch_scc1 .LBB5_3
; %bb.2:
	v_lshl_add_u64 v[4:5], v[2:3], 2, s[14:15]
	global_load_b32 v1, v[4:5], off
	s_wait_loadcnt 0x0
	v_subrev_nc_u32_e32 v1, s18, v1
	s_branch .LBB5_4
.LBB5_3:
	v_mov_b32_e32 v1, 0
.LBB5_4:
	s_load_b32 s14, s[0:1], 0x20
	s_wait_loadcnt 0x0
	v_subrev_nc_u32_e32 v4, s18, v6
	v_subrev_nc_u32_e32 v3, s18, v7
	s_mov_b32 s15, exec_lo
	v_cmpx_lt_i32_e64 v6, v7
	s_cbranch_execz .LBB5_12
; %bb.5:
	s_wait_xcnt 0x0
	s_load_b64 s[0:1], s[0:1], 0x18
	v_dual_ashrrev_i32 v5, 31, v4 :: v_dual_add_nc_u32 v10, s18, v2
	s_delay_alu instid0(VALU_DEP_1)
	v_lshl_add_u64 v[6:7], v[4:5], 3, s[16:17]
	s_wait_kmcnt 0x0
	v_lshl_add_u64 v[8:9], v[4:5], 2, s[0:1]
	v_mov_b32_e32 v5, v4
	s_mov_b32 s0, 0
	s_mov_b32 s1, 0
	s_branch .LBB5_8
.LBB5_6:                                ;   in Loop: Header=BB5_8 Depth=1
	global_load_b32 v11, v[8:9], off
	v_mad_u32 v14, s1, s2, v2
	s_add_co_i32 s1, s1, 1
	s_wait_loadcnt 0x0
	global_store_b32 v14, v11, s[4:5] scale_offset
	global_load_b64 v[12:13], v[6:7], off
	s_wait_loadcnt 0x0
	global_store_b64 v14, v[12:13], s[6:7] scale_offset
.LBB5_7:                                ;   in Loop: Header=BB5_8 Depth=1
	v_add_nc_u32_e32 v5, 1, v5
	s_wait_xcnt 0x1
	v_add_nc_u64_e32 v[6:7], 8, v[6:7]
	v_add_nc_u64_e32 v[8:9], 4, v[8:9]
	s_delay_alu instid0(VALU_DEP_3)
	v_cmp_ge_i32_e32 vcc_lo, v5, v3
	s_or_b32 s0, vcc_lo, s0
	s_wait_xcnt 0x0
	s_and_not1_b32 exec_lo, exec_lo, s0
	s_cbranch_execz .LBB5_12
.LBB5_8:                                ; =>This Inner Loop Header: Depth=1
	s_cmp_ge_i32 s1, s14
	s_mov_b32 s16, -1
                                        ; implicit-def: $vgpr11
	s_cbranch_scc0 .LBB5_10
; %bb.9:                                ;   in Loop: Header=BB5_8 Depth=1
	global_store_b32 v1, v10, s[8:9] scale_offset
	global_load_b32 v11, v[8:9], off
	s_mov_b32 s16, 0
	s_wait_loadcnt 0x0
	global_store_b32 v1, v11, s[10:11] scale_offset
	global_load_b64 v[12:13], v[6:7], off
	s_wait_xcnt 0x1
	v_add_nc_u32_e32 v11, 1, v1
	s_wait_loadcnt 0x0
	global_store_b64 v1, v[12:13], s[12:13] scale_offset
.LBB5_10:                               ;   in Loop: Header=BB5_8 Depth=1
	s_and_not1_b32 vcc_lo, exec_lo, s16
	s_cbranch_vccz .LBB5_6
; %bb.11:                               ;   in Loop: Header=BB5_8 Depth=1
	s_wait_xcnt 0x0
	v_mov_b32_e32 v1, v11
	s_branch .LBB5_7
.LBB5_12:
	s_or_b32 exec_lo, exec_lo, s15
; %bb.13:
	v_sub_nc_u32_e32 v1, v3, v4
	s_wait_kmcnt 0x0
	s_delay_alu instid0(VALU_DEP_1)
	v_cmp_gt_i32_e32 vcc_lo, s14, v1
	s_and_b32 exec_lo, exec_lo, vcc_lo
	s_cbranch_execz .LBB5_16
; %bb.14:
	v_mul_lo_u32 v4, s2, v1
	v_mov_b64_e32 v[2:3], 0
	s_mov_b32 s0, 0
	s_delay_alu instid0(VALU_DEP_2)
	v_add3_u32 v0, v0, v4, s3
	v_mov_b32_e32 v4, -1
.LBB5_15:                               ; =>This Inner Loop Header: Depth=1
	v_add_nc_u32_e32 v1, 1, v1
	s_clause 0x1
	global_store_b32 v0, v4, s[4:5] scale_offset
	global_store_b64 v0, v[2:3], s[6:7] scale_offset
	s_wait_xcnt 0x0
	v_add_nc_u32_e32 v0, s2, v0
	v_cmp_le_i32_e32 vcc_lo, s14, v1
	s_or_b32 s0, vcc_lo, s0
	s_delay_alu instid0(SALU_CYCLE_1)
	s_and_not1_b32 exec_lo, exec_lo, s0
	s_cbranch_execnz .LBB5_15
.LBB5_16:
	s_endpgm
	.section	.rodata,"a",@progbits
	.p2align	6, 0x0
	.amdhsa_kernel _ZN9rocsparseL14csr2hyb_kernelILj512E21rocsparse_complex_numIfEEEviPKT0_PKiS7_iPiPS3_S8_S8_S9_S8_21rocsparse_index_base_
		.amdhsa_group_segment_fixed_size 0
		.amdhsa_private_segment_fixed_size 0
		.amdhsa_kernarg_size 92
		.amdhsa_user_sgpr_count 2
		.amdhsa_user_sgpr_dispatch_ptr 0
		.amdhsa_user_sgpr_queue_ptr 0
		.amdhsa_user_sgpr_kernarg_segment_ptr 1
		.amdhsa_user_sgpr_dispatch_id 0
		.amdhsa_user_sgpr_kernarg_preload_length 0
		.amdhsa_user_sgpr_kernarg_preload_offset 0
		.amdhsa_user_sgpr_private_segment_size 0
		.amdhsa_wavefront_size32 1
		.amdhsa_uses_dynamic_stack 0
		.amdhsa_enable_private_segment 0
		.amdhsa_system_sgpr_workgroup_id_x 1
		.amdhsa_system_sgpr_workgroup_id_y 0
		.amdhsa_system_sgpr_workgroup_id_z 0
		.amdhsa_system_sgpr_workgroup_info 0
		.amdhsa_system_vgpr_workitem_id 0
		.amdhsa_next_free_vgpr 15
		.amdhsa_next_free_sgpr 20
		.amdhsa_named_barrier_count 0
		.amdhsa_reserve_vcc 1
		.amdhsa_float_round_mode_32 0
		.amdhsa_float_round_mode_16_64 0
		.amdhsa_float_denorm_mode_32 3
		.amdhsa_float_denorm_mode_16_64 3
		.amdhsa_fp16_overflow 0
		.amdhsa_memory_ordered 1
		.amdhsa_forward_progress 1
		.amdhsa_inst_pref_size 5
		.amdhsa_round_robin_scheduling 0
		.amdhsa_exception_fp_ieee_invalid_op 0
		.amdhsa_exception_fp_denorm_src 0
		.amdhsa_exception_fp_ieee_div_zero 0
		.amdhsa_exception_fp_ieee_overflow 0
		.amdhsa_exception_fp_ieee_underflow 0
		.amdhsa_exception_fp_ieee_inexact 0
		.amdhsa_exception_int_div_zero 0
	.end_amdhsa_kernel
	.section	.text._ZN9rocsparseL14csr2hyb_kernelILj512E21rocsparse_complex_numIfEEEviPKT0_PKiS7_iPiPS3_S8_S8_S9_S8_21rocsparse_index_base_,"axG",@progbits,_ZN9rocsparseL14csr2hyb_kernelILj512E21rocsparse_complex_numIfEEEviPKT0_PKiS7_iPiPS3_S8_S8_S9_S8_21rocsparse_index_base_,comdat
.Lfunc_end5:
	.size	_ZN9rocsparseL14csr2hyb_kernelILj512E21rocsparse_complex_numIfEEEviPKT0_PKiS7_iPiPS3_S8_S8_S9_S8_21rocsparse_index_base_, .Lfunc_end5-_ZN9rocsparseL14csr2hyb_kernelILj512E21rocsparse_complex_numIfEEEviPKT0_PKiS7_iPiPS3_S8_S8_S9_S8_21rocsparse_index_base_
                                        ; -- End function
	.set _ZN9rocsparseL14csr2hyb_kernelILj512E21rocsparse_complex_numIfEEEviPKT0_PKiS7_iPiPS3_S8_S8_S9_S8_21rocsparse_index_base_.num_vgpr, 15
	.set _ZN9rocsparseL14csr2hyb_kernelILj512E21rocsparse_complex_numIfEEEviPKT0_PKiS7_iPiPS3_S8_S8_S9_S8_21rocsparse_index_base_.num_agpr, 0
	.set _ZN9rocsparseL14csr2hyb_kernelILj512E21rocsparse_complex_numIfEEEviPKT0_PKiS7_iPiPS3_S8_S8_S9_S8_21rocsparse_index_base_.numbered_sgpr, 20
	.set _ZN9rocsparseL14csr2hyb_kernelILj512E21rocsparse_complex_numIfEEEviPKT0_PKiS7_iPiPS3_S8_S8_S9_S8_21rocsparse_index_base_.num_named_barrier, 0
	.set _ZN9rocsparseL14csr2hyb_kernelILj512E21rocsparse_complex_numIfEEEviPKT0_PKiS7_iPiPS3_S8_S8_S9_S8_21rocsparse_index_base_.private_seg_size, 0
	.set _ZN9rocsparseL14csr2hyb_kernelILj512E21rocsparse_complex_numIfEEEviPKT0_PKiS7_iPiPS3_S8_S8_S9_S8_21rocsparse_index_base_.uses_vcc, 1
	.set _ZN9rocsparseL14csr2hyb_kernelILj512E21rocsparse_complex_numIfEEEviPKT0_PKiS7_iPiPS3_S8_S8_S9_S8_21rocsparse_index_base_.uses_flat_scratch, 0
	.set _ZN9rocsparseL14csr2hyb_kernelILj512E21rocsparse_complex_numIfEEEviPKT0_PKiS7_iPiPS3_S8_S8_S9_S8_21rocsparse_index_base_.has_dyn_sized_stack, 0
	.set _ZN9rocsparseL14csr2hyb_kernelILj512E21rocsparse_complex_numIfEEEviPKT0_PKiS7_iPiPS3_S8_S8_S9_S8_21rocsparse_index_base_.has_recursion, 0
	.set _ZN9rocsparseL14csr2hyb_kernelILj512E21rocsparse_complex_numIfEEEviPKT0_PKiS7_iPiPS3_S8_S8_S9_S8_21rocsparse_index_base_.has_indirect_call, 0
	.section	.AMDGPU.csdata,"",@progbits
; Kernel info:
; codeLenInByte = 640
; TotalNumSgprs: 22
; NumVgprs: 15
; ScratchSize: 0
; MemoryBound: 0
; FloatMode: 240
; IeeeMode: 1
; LDSByteSize: 0 bytes/workgroup (compile time only)
; SGPRBlocks: 0
; VGPRBlocks: 0
; NumSGPRsForWavesPerEU: 22
; NumVGPRsForWavesPerEU: 15
; NamedBarCnt: 0
; Occupancy: 16
; WaveLimiterHint : 0
; COMPUTE_PGM_RSRC2:SCRATCH_EN: 0
; COMPUTE_PGM_RSRC2:USER_SGPR: 2
; COMPUTE_PGM_RSRC2:TRAP_HANDLER: 0
; COMPUTE_PGM_RSRC2:TGID_X_EN: 1
; COMPUTE_PGM_RSRC2:TGID_Y_EN: 0
; COMPUTE_PGM_RSRC2:TGID_Z_EN: 0
; COMPUTE_PGM_RSRC2:TIDIG_COMP_CNT: 0
	.section	.text._ZN9rocsparseL14csr2hyb_kernelILj512E21rocsparse_complex_numIdEEEviPKT0_PKiS7_iPiPS3_S8_S8_S9_S8_21rocsparse_index_base_,"axG",@progbits,_ZN9rocsparseL14csr2hyb_kernelILj512E21rocsparse_complex_numIdEEEviPKT0_PKiS7_iPiPS3_S8_S8_S9_S8_21rocsparse_index_base_,comdat
	.globl	_ZN9rocsparseL14csr2hyb_kernelILj512E21rocsparse_complex_numIdEEEviPKT0_PKiS7_iPiPS3_S8_S8_S9_S8_21rocsparse_index_base_ ; -- Begin function _ZN9rocsparseL14csr2hyb_kernelILj512E21rocsparse_complex_numIdEEEviPKT0_PKiS7_iPiPS3_S8_S8_S9_S8_21rocsparse_index_base_
	.p2align	8
	.type	_ZN9rocsparseL14csr2hyb_kernelILj512E21rocsparse_complex_numIdEEEviPKT0_PKiS7_iPiPS3_S8_S8_S9_S8_21rocsparse_index_base_,@function
_ZN9rocsparseL14csr2hyb_kernelILj512E21rocsparse_complex_numIdEEEviPKT0_PKiS7_iPiPS3_S8_S8_S9_S8_21rocsparse_index_base_: ; @_ZN9rocsparseL14csr2hyb_kernelILj512E21rocsparse_complex_numIdEEEviPKT0_PKiS7_iPiPS3_S8_S8_S9_S8_21rocsparse_index_base_
; %bb.0:
	s_load_b32 s2, s[0:1], 0x0
	s_bfe_u32 s3, ttmp6, 0x4000c
	s_and_b32 s4, ttmp6, 15
	s_add_co_i32 s3, s3, 1
	s_getreg_b32 s5, hwreg(HW_REG_IB_STS2, 6, 4)
	s_mul_i32 s3, ttmp9, s3
	s_delay_alu instid0(SALU_CYCLE_1) | instskip(SKIP_4) | instid1(SALU_CYCLE_1)
	s_add_co_i32 s4, s4, s3
	s_cmp_eq_u32 s5, 0
	s_cselect_b32 s3, ttmp9, s4
	s_mov_b32 s4, exec_lo
	s_lshl_b32 s3, s3, 9
	v_or_b32_e32 v2, s3, v0
	s_wait_kmcnt 0x0
	s_delay_alu instid0(VALU_DEP_1)
	v_cmpx_gt_i32_e64 s2, v2
	s_cbranch_execz .LBB6_16
; %bb.1:
	s_load_b128 s[16:19], s[0:1], 0x8
	v_ashrrev_i32_e32 v3, 31, v2
	s_wait_kmcnt 0x0
	s_delay_alu instid0(VALU_DEP_1)
	v_lshl_add_u64 v[4:5], v[2:3], 2, s[18:19]
	global_load_b64 v[6:7], v[4:5], off
	s_clause 0x2
	s_load_b256 s[4:11], s[0:1], 0x28
	s_load_b128 s[12:15], s[0:1], 0x48
	s_load_b32 s18, s[0:1], 0x58
	s_wait_kmcnt 0x0
	s_cmp_eq_u64 s[8:9], 0
	s_cbranch_scc1 .LBB6_3
; %bb.2:
	v_lshl_add_u64 v[4:5], v[2:3], 2, s[14:15]
	global_load_b32 v1, v[4:5], off
	s_wait_loadcnt 0x0
	v_subrev_nc_u32_e32 v1, s18, v1
	s_branch .LBB6_4
.LBB6_3:
	v_mov_b32_e32 v1, 0
.LBB6_4:
	s_load_b32 s14, s[0:1], 0x20
	s_wait_loadcnt 0x0
	v_subrev_nc_u32_e32 v4, s18, v6
	v_subrev_nc_u32_e32 v3, s18, v7
	s_mov_b32 s15, exec_lo
	v_cmpx_lt_i32_e64 v6, v7
	s_cbranch_execz .LBB6_12
; %bb.5:
	s_wait_xcnt 0x0
	s_load_b64 s[0:1], s[0:1], 0x18
	v_dual_ashrrev_i32 v5, 31, v4 :: v_dual_add_nc_u32 v10, s18, v2
	s_delay_alu instid0(VALU_DEP_1)
	v_lshl_add_u64 v[6:7], v[4:5], 4, s[16:17]
	s_wait_kmcnt 0x0
	v_lshl_add_u64 v[8:9], v[4:5], 2, s[0:1]
	v_mov_b32_e32 v5, v4
	s_mov_b32 s0, 0
	s_mov_b32 s1, 0
	s_branch .LBB6_8
.LBB6_6:                                ;   in Loop: Header=BB6_8 Depth=1
	global_load_b32 v11, v[8:9], off
	v_mad_u32 v16, s1, s2, v2
	s_add_co_i32 s1, s1, 1
	s_wait_loadcnt 0x0
	global_store_b32 v16, v11, s[4:5] scale_offset
	global_load_b128 v[12:15], v[6:7], off
	s_wait_loadcnt 0x0
	global_store_b128 v16, v[12:15], s[6:7] scale_offset
.LBB6_7:                                ;   in Loop: Header=BB6_8 Depth=1
	v_add_nc_u32_e32 v5, 1, v5
	s_wait_xcnt 0x1
	v_add_nc_u64_e32 v[6:7], 16, v[6:7]
	v_add_nc_u64_e32 v[8:9], 4, v[8:9]
	s_delay_alu instid0(VALU_DEP_3)
	v_cmp_ge_i32_e32 vcc_lo, v5, v3
	s_or_b32 s0, vcc_lo, s0
	s_wait_xcnt 0x0
	s_and_not1_b32 exec_lo, exec_lo, s0
	s_cbranch_execz .LBB6_12
.LBB6_8:                                ; =>This Inner Loop Header: Depth=1
	s_cmp_ge_i32 s1, s14
	s_mov_b32 s16, -1
                                        ; implicit-def: $vgpr11
	s_cbranch_scc0 .LBB6_10
; %bb.9:                                ;   in Loop: Header=BB6_8 Depth=1
	global_store_b32 v1, v10, s[8:9] scale_offset
	global_load_b32 v11, v[8:9], off
	s_mov_b32 s16, 0
	s_wait_loadcnt 0x0
	global_store_b32 v1, v11, s[10:11] scale_offset
	global_load_b128 v[12:15], v[6:7], off
	s_wait_xcnt 0x1
	v_add_nc_u32_e32 v11, 1, v1
	s_wait_loadcnt 0x0
	global_store_b128 v1, v[12:15], s[12:13] scale_offset
.LBB6_10:                               ;   in Loop: Header=BB6_8 Depth=1
	s_and_not1_b32 vcc_lo, exec_lo, s16
	s_cbranch_vccz .LBB6_6
; %bb.11:                               ;   in Loop: Header=BB6_8 Depth=1
	s_wait_xcnt 0x0
	v_mov_b32_e32 v1, v11
	s_branch .LBB6_7
.LBB6_12:
	s_or_b32 exec_lo, exec_lo, s15
; %bb.13:
	v_sub_nc_u32_e32 v1, v3, v4
	s_wait_kmcnt 0x0
	s_delay_alu instid0(VALU_DEP_1)
	v_cmp_gt_i32_e32 vcc_lo, s14, v1
	s_and_b32 exec_lo, exec_lo, vcc_lo
	s_cbranch_execz .LBB6_16
; %bb.14:
	v_mul_lo_u32 v5, s2, v1
	v_dual_mov_b32 v2, 0 :: v_dual_mov_b32 v6, -1
	s_mov_b32 s0, 0
	s_delay_alu instid0(VALU_DEP_1) | instskip(NEXT) | instid1(VALU_DEP_3)
	v_dual_mov_b32 v3, v2 :: v_dual_mov_b32 v4, v2
	v_add3_u32 v0, v0, v5, s3
	v_mov_b32_e32 v5, v2
.LBB6_15:                               ; =>This Inner Loop Header: Depth=1
	v_add_nc_u32_e32 v1, 1, v1
	s_clause 0x1
	global_store_b32 v0, v6, s[4:5] scale_offset
	global_store_b128 v0, v[2:5], s[6:7] scale_offset
	s_wait_xcnt 0x0
	v_add_nc_u32_e32 v0, s2, v0
	v_cmp_le_i32_e32 vcc_lo, s14, v1
	s_or_b32 s0, vcc_lo, s0
	s_delay_alu instid0(SALU_CYCLE_1)
	s_and_not1_b32 exec_lo, exec_lo, s0
	s_cbranch_execnz .LBB6_15
.LBB6_16:
	s_endpgm
	.section	.rodata,"a",@progbits
	.p2align	6, 0x0
	.amdhsa_kernel _ZN9rocsparseL14csr2hyb_kernelILj512E21rocsparse_complex_numIdEEEviPKT0_PKiS7_iPiPS3_S8_S8_S9_S8_21rocsparse_index_base_
		.amdhsa_group_segment_fixed_size 0
		.amdhsa_private_segment_fixed_size 0
		.amdhsa_kernarg_size 92
		.amdhsa_user_sgpr_count 2
		.amdhsa_user_sgpr_dispatch_ptr 0
		.amdhsa_user_sgpr_queue_ptr 0
		.amdhsa_user_sgpr_kernarg_segment_ptr 1
		.amdhsa_user_sgpr_dispatch_id 0
		.amdhsa_user_sgpr_kernarg_preload_length 0
		.amdhsa_user_sgpr_kernarg_preload_offset 0
		.amdhsa_user_sgpr_private_segment_size 0
		.amdhsa_wavefront_size32 1
		.amdhsa_uses_dynamic_stack 0
		.amdhsa_enable_private_segment 0
		.amdhsa_system_sgpr_workgroup_id_x 1
		.amdhsa_system_sgpr_workgroup_id_y 0
		.amdhsa_system_sgpr_workgroup_id_z 0
		.amdhsa_system_sgpr_workgroup_info 0
		.amdhsa_system_vgpr_workitem_id 0
		.amdhsa_next_free_vgpr 17
		.amdhsa_next_free_sgpr 20
		.amdhsa_named_barrier_count 0
		.amdhsa_reserve_vcc 1
		.amdhsa_float_round_mode_32 0
		.amdhsa_float_round_mode_16_64 0
		.amdhsa_float_denorm_mode_32 3
		.amdhsa_float_denorm_mode_16_64 3
		.amdhsa_fp16_overflow 0
		.amdhsa_memory_ordered 1
		.amdhsa_forward_progress 1
		.amdhsa_inst_pref_size 6
		.amdhsa_round_robin_scheduling 0
		.amdhsa_exception_fp_ieee_invalid_op 0
		.amdhsa_exception_fp_denorm_src 0
		.amdhsa_exception_fp_ieee_div_zero 0
		.amdhsa_exception_fp_ieee_overflow 0
		.amdhsa_exception_fp_ieee_underflow 0
		.amdhsa_exception_fp_ieee_inexact 0
		.amdhsa_exception_int_div_zero 0
	.end_amdhsa_kernel
	.section	.text._ZN9rocsparseL14csr2hyb_kernelILj512E21rocsparse_complex_numIdEEEviPKT0_PKiS7_iPiPS3_S8_S8_S9_S8_21rocsparse_index_base_,"axG",@progbits,_ZN9rocsparseL14csr2hyb_kernelILj512E21rocsparse_complex_numIdEEEviPKT0_PKiS7_iPiPS3_S8_S8_S9_S8_21rocsparse_index_base_,comdat
.Lfunc_end6:
	.size	_ZN9rocsparseL14csr2hyb_kernelILj512E21rocsparse_complex_numIdEEEviPKT0_PKiS7_iPiPS3_S8_S8_S9_S8_21rocsparse_index_base_, .Lfunc_end6-_ZN9rocsparseL14csr2hyb_kernelILj512E21rocsparse_complex_numIdEEEviPKT0_PKiS7_iPiPS3_S8_S8_S9_S8_21rocsparse_index_base_
                                        ; -- End function
	.set _ZN9rocsparseL14csr2hyb_kernelILj512E21rocsparse_complex_numIdEEEviPKT0_PKiS7_iPiPS3_S8_S8_S9_S8_21rocsparse_index_base_.num_vgpr, 17
	.set _ZN9rocsparseL14csr2hyb_kernelILj512E21rocsparse_complex_numIdEEEviPKT0_PKiS7_iPiPS3_S8_S8_S9_S8_21rocsparse_index_base_.num_agpr, 0
	.set _ZN9rocsparseL14csr2hyb_kernelILj512E21rocsparse_complex_numIdEEEviPKT0_PKiS7_iPiPS3_S8_S8_S9_S8_21rocsparse_index_base_.numbered_sgpr, 20
	.set _ZN9rocsparseL14csr2hyb_kernelILj512E21rocsparse_complex_numIdEEEviPKT0_PKiS7_iPiPS3_S8_S8_S9_S8_21rocsparse_index_base_.num_named_barrier, 0
	.set _ZN9rocsparseL14csr2hyb_kernelILj512E21rocsparse_complex_numIdEEEviPKT0_PKiS7_iPiPS3_S8_S8_S9_S8_21rocsparse_index_base_.private_seg_size, 0
	.set _ZN9rocsparseL14csr2hyb_kernelILj512E21rocsparse_complex_numIdEEEviPKT0_PKiS7_iPiPS3_S8_S8_S9_S8_21rocsparse_index_base_.uses_vcc, 1
	.set _ZN9rocsparseL14csr2hyb_kernelILj512E21rocsparse_complex_numIdEEEviPKT0_PKiS7_iPiPS3_S8_S8_S9_S8_21rocsparse_index_base_.uses_flat_scratch, 0
	.set _ZN9rocsparseL14csr2hyb_kernelILj512E21rocsparse_complex_numIdEEEviPKT0_PKiS7_iPiPS3_S8_S8_S9_S8_21rocsparse_index_base_.has_dyn_sized_stack, 0
	.set _ZN9rocsparseL14csr2hyb_kernelILj512E21rocsparse_complex_numIdEEEviPKT0_PKiS7_iPiPS3_S8_S8_S9_S8_21rocsparse_index_base_.has_recursion, 0
	.set _ZN9rocsparseL14csr2hyb_kernelILj512E21rocsparse_complex_numIdEEEviPKT0_PKiS7_iPiPS3_S8_S8_S9_S8_21rocsparse_index_base_.has_indirect_call, 0
	.section	.AMDGPU.csdata,"",@progbits
; Kernel info:
; codeLenInByte = 656
; TotalNumSgprs: 22
; NumVgprs: 17
; ScratchSize: 0
; MemoryBound: 0
; FloatMode: 240
; IeeeMode: 1
; LDSByteSize: 0 bytes/workgroup (compile time only)
; SGPRBlocks: 0
; VGPRBlocks: 1
; NumSGPRsForWavesPerEU: 22
; NumVGPRsForWavesPerEU: 17
; NamedBarCnt: 0
; Occupancy: 16
; WaveLimiterHint : 0
; COMPUTE_PGM_RSRC2:SCRATCH_EN: 0
; COMPUTE_PGM_RSRC2:USER_SGPR: 2
; COMPUTE_PGM_RSRC2:TRAP_HANDLER: 0
; COMPUTE_PGM_RSRC2:TGID_X_EN: 1
; COMPUTE_PGM_RSRC2:TGID_Y_EN: 0
; COMPUTE_PGM_RSRC2:TGID_Z_EN: 0
; COMPUTE_PGM_RSRC2:TIDIG_COMP_CNT: 0
	.section	.AMDGPU.gpr_maximums,"",@progbits
	.set amdgpu.max_num_vgpr, 0
	.set amdgpu.max_num_agpr, 0
	.set amdgpu.max_num_sgpr, 0
	.section	.AMDGPU.csdata,"",@progbits
	.type	__hip_cuid_700705b0b5d51c8d,@object ; @__hip_cuid_700705b0b5d51c8d
	.section	.bss,"aw",@nobits
	.globl	__hip_cuid_700705b0b5d51c8d
__hip_cuid_700705b0b5d51c8d:
	.byte	0                               ; 0x0
	.size	__hip_cuid_700705b0b5d51c8d, 1

	.ident	"AMD clang version 22.0.0git (https://github.com/RadeonOpenCompute/llvm-project roc-7.2.4 26084 f58b06dce1f9c15707c5f808fd002e18c2accf7e)"
	.section	".note.GNU-stack","",@progbits
	.addrsig
	.addrsig_sym __hip_cuid_700705b0b5d51c8d
	.amdgpu_metadata
---
amdhsa.kernels:
  - .args:
      - .offset:         0
        .size:           4
        .value_kind:     by_value
      - .address_space:  global
        .offset:         8
        .size:           8
        .value_kind:     global_buffer
      - .address_space:  global
        .offset:         16
        .size:           8
        .value_kind:     global_buffer
      - .offset:         24
        .size:           4
        .value_kind:     hidden_block_count_x
      - .offset:         28
        .size:           4
        .value_kind:     hidden_block_count_y
      - .offset:         32
        .size:           4
        .value_kind:     hidden_block_count_z
      - .offset:         36
        .size:           2
        .value_kind:     hidden_group_size_x
      - .offset:         38
        .size:           2
        .value_kind:     hidden_group_size_y
      - .offset:         40
        .size:           2
        .value_kind:     hidden_group_size_z
      - .offset:         42
        .size:           2
        .value_kind:     hidden_remainder_x
      - .offset:         44
        .size:           2
        .value_kind:     hidden_remainder_y
      - .offset:         46
        .size:           2
        .value_kind:     hidden_remainder_z
      - .offset:         64
        .size:           8
        .value_kind:     hidden_global_offset_x
      - .offset:         72
        .size:           8
        .value_kind:     hidden_global_offset_y
      - .offset:         80
        .size:           8
        .value_kind:     hidden_global_offset_z
      - .offset:         88
        .size:           2
        .value_kind:     hidden_grid_dims
    .group_segment_fixed_size: 2048
    .kernarg_segment_align: 8
    .kernarg_segment_size: 280
    .language:       OpenCL C
    .language_version:
      - 2
      - 0
    .max_flat_workgroup_size: 512
    .name:           _ZN9rocsparseL22ell_width_kernel_part1ILj512EiiEEvT1_PKT0_PS1_
    .private_segment_fixed_size: 0
    .sgpr_count:     12
    .sgpr_spill_count: 0
    .symbol:         _ZN9rocsparseL22ell_width_kernel_part1ILj512EiiEEvT1_PKT0_PS1_.kd
    .uniform_work_group_size: 1
    .uses_dynamic_stack: false
    .vgpr_count:     8
    .vgpr_spill_count: 0
    .wavefront_size: 32
  - .args:
      - .offset:         0
        .size:           4
        .value_kind:     by_value
      - .address_space:  global
        .offset:         8
        .size:           8
        .value_kind:     global_buffer
    .group_segment_fixed_size: 2048
    .kernarg_segment_align: 8
    .kernarg_segment_size: 16
    .language:       OpenCL C
    .language_version:
      - 2
      - 0
    .max_flat_workgroup_size: 512
    .name:           _ZN9rocsparseL22ell_width_kernel_part2ILj512EiEEvT0_PS1_
    .private_segment_fixed_size: 0
    .sgpr_count:     8
    .sgpr_spill_count: 0
    .symbol:         _ZN9rocsparseL22ell_width_kernel_part2ILj512EiEEvT0_PS1_.kd
    .uniform_work_group_size: 1
    .uses_dynamic_stack: false
    .vgpr_count:     16
    .vgpr_spill_count: 0
    .wavefront_size: 32
  - .args:
      - .offset:         0
        .size:           4
        .value_kind:     by_value
      - .offset:         4
        .size:           4
        .value_kind:     by_value
      - .address_space:  global
        .offset:         8
        .size:           8
        .value_kind:     global_buffer
      - .address_space:  global
        .offset:         16
        .size:           8
        .value_kind:     global_buffer
      - .offset:         24
        .size:           4
        .value_kind:     by_value
    .group_segment_fixed_size: 0
    .kernarg_segment_align: 8
    .kernarg_segment_size: 28
    .language:       OpenCL C
    .language_version:
      - 2
      - 0
    .max_flat_workgroup_size: 512
    .name:           _ZN9rocsparseL11hyb_coo_nnzILj512EEEviiPKiPi21rocsparse_index_base_
    .private_segment_fixed_size: 0
    .sgpr_count:     13
    .sgpr_spill_count: 0
    .symbol:         _ZN9rocsparseL11hyb_coo_nnzILj512EEEviiPKiPi21rocsparse_index_base_.kd
    .uniform_work_group_size: 1
    .uses_dynamic_stack: false
    .vgpr_count:     4
    .vgpr_spill_count: 0
    .wavefront_size: 32
  - .args:
      - .offset:         0
        .size:           4
        .value_kind:     by_value
      - .address_space:  global
        .offset:         8
        .size:           8
        .value_kind:     global_buffer
      - .address_space:  global
        .offset:         16
        .size:           8
        .value_kind:     global_buffer
      - .address_space:  global
        .offset:         24
        .size:           8
        .value_kind:     global_buffer
      - .offset:         32
        .size:           4
        .value_kind:     by_value
      - .address_space:  global
        .offset:         40
        .size:           8
        .value_kind:     global_buffer
      - .address_space:  global
        .offset:         48
        .size:           8
        .value_kind:     global_buffer
      - .address_space:  global
        .offset:         56
        .size:           8
        .value_kind:     global_buffer
      - .address_space:  global
        .offset:         64
        .size:           8
        .value_kind:     global_buffer
      - .address_space:  global
        .offset:         72
        .size:           8
        .value_kind:     global_buffer
      - .address_space:  global
        .offset:         80
        .size:           8
        .value_kind:     global_buffer
      - .offset:         88
        .size:           4
        .value_kind:     by_value
    .group_segment_fixed_size: 0
    .kernarg_segment_align: 8
    .kernarg_segment_size: 92
    .language:       OpenCL C
    .language_version:
      - 2
      - 0
    .max_flat_workgroup_size: 512
    .name:           _ZN9rocsparseL14csr2hyb_kernelILj512EfEEviPKT0_PKiS5_iPiPS1_S6_S6_S7_S6_21rocsparse_index_base_
    .private_segment_fixed_size: 0
    .sgpr_count:     22
    .sgpr_spill_count: 0
    .symbol:         _ZN9rocsparseL14csr2hyb_kernelILj512EfEEviPKT0_PKiS5_iPiPS1_S6_S6_S7_S6_21rocsparse_index_base_.kd
    .uniform_work_group_size: 1
    .uses_dynamic_stack: false
    .vgpr_count:     16
    .vgpr_spill_count: 0
    .wavefront_size: 32
  - .args:
      - .offset:         0
        .size:           4
        .value_kind:     by_value
      - .address_space:  global
        .offset:         8
        .size:           8
        .value_kind:     global_buffer
      - .address_space:  global
        .offset:         16
        .size:           8
        .value_kind:     global_buffer
      - .address_space:  global
        .offset:         24
        .size:           8
        .value_kind:     global_buffer
      - .offset:         32
        .size:           4
        .value_kind:     by_value
      - .address_space:  global
        .offset:         40
        .size:           8
        .value_kind:     global_buffer
      - .address_space:  global
        .offset:         48
        .size:           8
        .value_kind:     global_buffer
      - .address_space:  global
        .offset:         56
        .size:           8
        .value_kind:     global_buffer
      - .address_space:  global
        .offset:         64
        .size:           8
        .value_kind:     global_buffer
      - .address_space:  global
        .offset:         72
        .size:           8
        .value_kind:     global_buffer
      - .address_space:  global
        .offset:         80
        .size:           8
        .value_kind:     global_buffer
      - .offset:         88
        .size:           4
        .value_kind:     by_value
    .group_segment_fixed_size: 0
    .kernarg_segment_align: 8
    .kernarg_segment_size: 92
    .language:       OpenCL C
    .language_version:
      - 2
      - 0
    .max_flat_workgroup_size: 512
    .name:           _ZN9rocsparseL14csr2hyb_kernelILj512EdEEviPKT0_PKiS5_iPiPS1_S6_S6_S7_S6_21rocsparse_index_base_
    .private_segment_fixed_size: 0
    .sgpr_count:     22
    .sgpr_spill_count: 0
    .symbol:         _ZN9rocsparseL14csr2hyb_kernelILj512EdEEviPKT0_PKiS5_iPiPS1_S6_S6_S7_S6_21rocsparse_index_base_.kd
    .uniform_work_group_size: 1
    .uses_dynamic_stack: false
    .vgpr_count:     15
    .vgpr_spill_count: 0
    .wavefront_size: 32
  - .args:
      - .offset:         0
        .size:           4
        .value_kind:     by_value
      - .address_space:  global
        .offset:         8
        .size:           8
        .value_kind:     global_buffer
      - .address_space:  global
        .offset:         16
        .size:           8
        .value_kind:     global_buffer
      - .address_space:  global
        .offset:         24
        .size:           8
        .value_kind:     global_buffer
      - .offset:         32
        .size:           4
        .value_kind:     by_value
      - .address_space:  global
        .offset:         40
        .size:           8
        .value_kind:     global_buffer
      - .address_space:  global
        .offset:         48
        .size:           8
        .value_kind:     global_buffer
      - .address_space:  global
        .offset:         56
        .size:           8
        .value_kind:     global_buffer
      - .address_space:  global
        .offset:         64
        .size:           8
        .value_kind:     global_buffer
      - .address_space:  global
        .offset:         72
        .size:           8
        .value_kind:     global_buffer
      - .address_space:  global
        .offset:         80
        .size:           8
        .value_kind:     global_buffer
      - .offset:         88
        .size:           4
        .value_kind:     by_value
    .group_segment_fixed_size: 0
    .kernarg_segment_align: 8
    .kernarg_segment_size: 92
    .language:       OpenCL C
    .language_version:
      - 2
      - 0
    .max_flat_workgroup_size: 512
    .name:           _ZN9rocsparseL14csr2hyb_kernelILj512E21rocsparse_complex_numIfEEEviPKT0_PKiS7_iPiPS3_S8_S8_S9_S8_21rocsparse_index_base_
    .private_segment_fixed_size: 0
    .sgpr_count:     22
    .sgpr_spill_count: 0
    .symbol:         _ZN9rocsparseL14csr2hyb_kernelILj512E21rocsparse_complex_numIfEEEviPKT0_PKiS7_iPiPS3_S8_S8_S9_S8_21rocsparse_index_base_.kd
    .uniform_work_group_size: 1
    .uses_dynamic_stack: false
    .vgpr_count:     15
    .vgpr_spill_count: 0
    .wavefront_size: 32
  - .args:
      - .offset:         0
        .size:           4
        .value_kind:     by_value
      - .address_space:  global
        .offset:         8
        .size:           8
        .value_kind:     global_buffer
      - .address_space:  global
        .offset:         16
        .size:           8
        .value_kind:     global_buffer
      - .address_space:  global
        .offset:         24
        .size:           8
        .value_kind:     global_buffer
      - .offset:         32
        .size:           4
        .value_kind:     by_value
      - .address_space:  global
        .offset:         40
        .size:           8
        .value_kind:     global_buffer
      - .address_space:  global
        .offset:         48
        .size:           8
        .value_kind:     global_buffer
      - .address_space:  global
        .offset:         56
        .size:           8
        .value_kind:     global_buffer
      - .address_space:  global
        .offset:         64
        .size:           8
        .value_kind:     global_buffer
      - .address_space:  global
        .offset:         72
        .size:           8
        .value_kind:     global_buffer
      - .address_space:  global
        .offset:         80
        .size:           8
        .value_kind:     global_buffer
      - .offset:         88
        .size:           4
        .value_kind:     by_value
    .group_segment_fixed_size: 0
    .kernarg_segment_align: 8
    .kernarg_segment_size: 92
    .language:       OpenCL C
    .language_version:
      - 2
      - 0
    .max_flat_workgroup_size: 512
    .name:           _ZN9rocsparseL14csr2hyb_kernelILj512E21rocsparse_complex_numIdEEEviPKT0_PKiS7_iPiPS3_S8_S8_S9_S8_21rocsparse_index_base_
    .private_segment_fixed_size: 0
    .sgpr_count:     22
    .sgpr_spill_count: 0
    .symbol:         _ZN9rocsparseL14csr2hyb_kernelILj512E21rocsparse_complex_numIdEEEviPKT0_PKiS7_iPiPS3_S8_S8_S9_S8_21rocsparse_index_base_.kd
    .uniform_work_group_size: 1
    .uses_dynamic_stack: false
    .vgpr_count:     17
    .vgpr_spill_count: 0
    .wavefront_size: 32
amdhsa.target:   amdgcn-amd-amdhsa--gfx1250
amdhsa.version:
  - 1
  - 2
...

	.end_amdgpu_metadata
